;; amdgpu-corpus repo=ROCm/rocFFT kind=compiled arch=gfx1100 opt=O3
	.text
	.amdgcn_target "amdgcn-amd-amdhsa--gfx1100"
	.amdhsa_code_object_version 6
	.protected	bluestein_single_back_len1430_dim1_dp_op_CI_CI ; -- Begin function bluestein_single_back_len1430_dim1_dp_op_CI_CI
	.globl	bluestein_single_back_len1430_dim1_dp_op_CI_CI
	.p2align	8
	.type	bluestein_single_back_len1430_dim1_dp_op_CI_CI,@function
bluestein_single_back_len1430_dim1_dp_op_CI_CI: ; @bluestein_single_back_len1430_dim1_dp_op_CI_CI
; %bb.0:
	s_load_b128 s[4:7], s[0:1], 0x28
	v_mul_u32_u24_e32 v1, 0x1cb, v0
	s_mov_b32 s2, exec_lo
	v_mov_b32_e32 v129, 0
	s_delay_alu instid0(VALU_DEP_2) | instskip(NEXT) | instid1(VALU_DEP_1)
	v_lshrrev_b32_e32 v1, 16, v1
	v_add_nc_u32_e32 v128, s15, v1
	s_waitcnt lgkmcnt(0)
	s_delay_alu instid0(VALU_DEP_1)
	v_cmpx_gt_u64_e64 s[4:5], v[128:129]
	s_cbranch_execz .LBB0_23
; %bb.1:
	s_clause 0x1
	s_load_b64 s[14:15], s[0:1], 0x0
	s_load_b64 s[12:13], s[0:1], 0x38
	v_mul_lo_u16 v1, 0x8f, v1
	s_delay_alu instid0(VALU_DEP_1) | instskip(NEXT) | instid1(VALU_DEP_1)
	v_sub_nc_u16 v0, v0, v1
	v_and_b32_e32 v202, 0xffff, v0
	v_cmp_gt_u16_e32 vcc_lo, 0x6e, v0
	s_delay_alu instid0(VALU_DEP_2)
	v_lshlrev_b32_e32 v201, 4, v202
	s_and_saveexec_b32 s3, vcc_lo
	s_cbranch_execz .LBB0_3
; %bb.2:
	s_load_b64 s[4:5], s[0:1], 0x18
	s_waitcnt lgkmcnt(0)
	v_add_co_u32 v15, s2, s14, v201
	s_delay_alu instid0(VALU_DEP_1) | instskip(NEXT) | instid1(VALU_DEP_2)
	v_add_co_ci_u32_e64 v18, null, s15, 0, s2
	v_add_co_u32 v16, s2, 0x1000, v15
	s_delay_alu instid0(VALU_DEP_1) | instskip(SKIP_1) | instid1(VALU_DEP_1)
	v_add_co_ci_u32_e64 v17, s2, 0, v18, s2
	v_add_co_u32 v24, s2, 0x2000, v15
	v_add_co_ci_u32_e64 v25, s2, 0, v18, s2
	v_add_co_u32 v36, s2, 0x3000, v15
	s_delay_alu instid0(VALU_DEP_1) | instskip(SKIP_4) | instid1(VALU_DEP_1)
	v_add_co_ci_u32_e64 v37, s2, 0, v18, s2
	v_add_co_u32 v88, s2, 0x4000, v15
	s_load_b128 s[8:11], s[4:5], 0x0
	v_add_co_ci_u32_e64 v89, s2, 0, v18, s2
	v_add_co_u32 v96, s2, 0x5000, v15
	v_add_co_ci_u32_e64 v97, s2, 0, v18, s2
	s_clause 0x2
	global_load_b128 v[0:3], v201, s[14:15]
	global_load_b128 v[4:7], v201, s[14:15] offset:1760
	global_load_b128 v[8:11], v201, s[14:15] offset:3520
	s_waitcnt lgkmcnt(0)
	v_mad_u64_u32 v[20:21], null, s10, v128, 0
	v_mad_u64_u32 v[28:29], null, s8, v202, 0
	s_mul_i32 s4, s9, 0x6e0
	s_mul_hi_u32 s5, s8, 0x6e0
	s_delay_alu instid0(SALU_CYCLE_1) | instskip(NEXT) | instid1(VALU_DEP_2)
	s_add_i32 s5, s5, s4
	v_mov_b32_e32 v12, v21
	s_delay_alu instid0(VALU_DEP_1) | instskip(NEXT) | instid1(VALU_DEP_3)
	v_mad_u64_u32 v[13:14], null, s11, v128, v[12:13]
	v_mov_b32_e32 v12, v29
	s_delay_alu instid0(VALU_DEP_1)
	v_mad_u64_u32 v[22:23], null, s9, v202, v[12:13]
	v_mov_b32_e32 v21, v13
	s_clause 0x1
	global_load_b128 v[12:15], v[16:17], off offset:1184
	global_load_b128 v[16:19], v[16:17], off offset:2944
	v_lshlrev_b64 v[30:31], 4, v[20:21]
	v_mov_b32_e32 v29, v22
	s_clause 0x1
	global_load_b128 v[20:23], v[24:25], off offset:608
	global_load_b128 v[24:27], v[24:25], off offset:2368
	v_add_co_u32 v30, s2, s6, v30
	v_lshlrev_b64 v[28:29], 4, v[28:29]
	v_add_co_ci_u32_e64 v31, s2, s7, v31, s2
	s_mul_i32 s6, s8, 0x6e0
	s_delay_alu instid0(VALU_DEP_2) | instskip(NEXT) | instid1(VALU_DEP_1)
	v_add_co_u32 v40, s2, v30, v28
	v_add_co_ci_u32_e64 v41, s2, v31, v29, s2
	s_clause 0x1
	global_load_b128 v[28:31], v[36:37], off offset:32
	global_load_b128 v[32:35], v[36:37], off offset:1792
	v_add_co_u32 v44, s2, v40, s6
	s_delay_alu instid0(VALU_DEP_1) | instskip(SKIP_2) | instid1(VALU_DEP_1)
	v_add_co_ci_u32_e64 v45, s2, s5, v41, s2
	global_load_b128 v[36:39], v[36:37], off offset:3552
	v_add_co_u32 v48, s2, v44, s6
	v_add_co_ci_u32_e64 v49, s2, s5, v45, s2
	s_clause 0x1
	global_load_b128 v[40:43], v[40:41], off
	global_load_b128 v[44:47], v[44:45], off
	v_add_co_u32 v52, s2, v48, s6
	s_delay_alu instid0(VALU_DEP_1) | instskip(NEXT) | instid1(VALU_DEP_2)
	v_add_co_ci_u32_e64 v53, s2, s5, v49, s2
	v_add_co_u32 v56, s2, v52, s6
	s_delay_alu instid0(VALU_DEP_1) | instskip(SKIP_4) | instid1(VALU_DEP_1)
	v_add_co_ci_u32_e64 v57, s2, s5, v53, s2
	s_clause 0x1
	global_load_b128 v[48:51], v[48:49], off
	global_load_b128 v[52:55], v[52:53], off
	v_add_co_u32 v60, s2, v56, s6
	v_add_co_ci_u32_e64 v61, s2, s5, v57, s2
	global_load_b128 v[56:59], v[56:57], off
	v_add_co_u32 v64, s2, v60, s6
	s_delay_alu instid0(VALU_DEP_1) | instskip(SKIP_2) | instid1(VALU_DEP_1)
	v_add_co_ci_u32_e64 v65, s2, s5, v61, s2
	global_load_b128 v[60:63], v[60:61], off
	v_add_co_u32 v68, s2, v64, s6
	v_add_co_ci_u32_e64 v69, s2, s5, v65, s2
	global_load_b128 v[64:67], v[64:65], off
	v_add_co_u32 v72, s2, v68, s6
	s_delay_alu instid0(VALU_DEP_1) | instskip(SKIP_2) | instid1(VALU_DEP_1)
	v_add_co_ci_u32_e64 v73, s2, s5, v69, s2
	;; [unrolled: 7-line block ×3, first 2 shown]
	global_load_b128 v[76:79], v[76:77], off
	v_add_co_u32 v92, s2, v80, s6
	v_add_co_ci_u32_e64 v93, s2, s5, v81, s2
	global_load_b128 v[80:83], v[80:81], off
	v_add_co_u32 v100, s2, v92, s6
	s_delay_alu instid0(VALU_DEP_1)
	v_add_co_ci_u32_e64 v101, s2, s5, v93, s2
	s_clause 0x1
	global_load_b128 v[84:87], v[88:89], off offset:1216
	global_load_b128 v[88:91], v[88:89], off offset:2976
	global_load_b128 v[92:95], v[92:93], off
	global_load_b128 v[96:99], v[96:97], off offset:640
	global_load_b128 v[100:103], v[100:101], off
	s_waitcnt vmcnt(15)
	v_mul_f64 v[104:105], v[42:43], v[2:3]
	v_mul_f64 v[2:3], v[40:41], v[2:3]
	s_waitcnt vmcnt(14)
	v_mul_f64 v[106:107], v[46:47], v[6:7]
	v_mul_f64 v[6:7], v[44:45], v[6:7]
	;; [unrolled: 3-line block ×10, first 2 shown]
	v_fma_f64 v[38:39], v[40:41], v[0:1], v[104:105]
	v_fma_f64 v[40:41], v[42:43], v[0:1], -v[2:3]
	v_fma_f64 v[0:1], v[44:45], v[4:5], v[106:107]
	v_fma_f64 v[2:3], v[46:47], v[4:5], -v[6:7]
	s_waitcnt vmcnt(4)
	v_mul_f64 v[126:127], v[82:83], v[86:87]
	v_mul_f64 v[86:87], v[80:81], v[86:87]
	s_waitcnt vmcnt(2)
	v_mul_f64 v[129:130], v[94:95], v[90:91]
	v_mul_f64 v[90:91], v[92:93], v[90:91]
	;; [unrolled: 3-line block ×3, first 2 shown]
	v_fma_f64 v[4:5], v[48:49], v[8:9], v[108:109]
	v_fma_f64 v[6:7], v[50:51], v[8:9], -v[10:11]
	v_fma_f64 v[8:9], v[52:53], v[12:13], v[110:111]
	v_fma_f64 v[10:11], v[54:55], v[12:13], -v[14:15]
	;; [unrolled: 2-line block ×11, first 2 shown]
	ds_store_b128 v201, v[38:41]
	ds_store_b128 v201, v[0:3] offset:1760
	ds_store_b128 v201, v[4:7] offset:3520
	;; [unrolled: 1-line block ×12, first 2 shown]
.LBB0_3:
	s_or_b32 exec_lo, exec_lo, s3
	s_waitcnt lgkmcnt(0)
	s_barrier
	buffer_gl0_inv
                                        ; implicit-def: $vgpr8_vgpr9
                                        ; implicit-def: $vgpr48_vgpr49
                                        ; implicit-def: $vgpr44_vgpr45
                                        ; implicit-def: $vgpr40_vgpr41
                                        ; implicit-def: $vgpr36_vgpr37
                                        ; implicit-def: $vgpr32_vgpr33
                                        ; implicit-def: $vgpr28_vgpr29
                                        ; implicit-def: $vgpr24_vgpr25
                                        ; implicit-def: $vgpr20_vgpr21
                                        ; implicit-def: $vgpr16_vgpr17
                                        ; implicit-def: $vgpr12_vgpr13
                                        ; implicit-def: $vgpr4_vgpr5
                                        ; implicit-def: $vgpr0_vgpr1
	s_and_saveexec_b32 s2, vcc_lo
	s_cbranch_execz .LBB0_5
; %bb.4:
	ds_load_b128 v[8:11], v201
	ds_load_b128 v[48:51], v201 offset:1760
	ds_load_b128 v[44:47], v201 offset:3520
	;; [unrolled: 1-line block ×12, first 2 shown]
.LBB0_5:
	s_or_b32 exec_lo, exec_lo, s2
	s_waitcnt lgkmcnt(11)
	v_add_f64 v[56:57], v[8:9], v[48:49]
	v_add_f64 v[58:59], v[10:11], v[50:51]
	s_waitcnt lgkmcnt(0)
	v_add_f64 v[60:61], v[48:49], -v[0:1]
	v_add_f64 v[62:63], v[50:51], -v[2:3]
	v_add_f64 v[74:75], v[36:37], v[16:17]
	v_add_f64 v[76:77], v[38:39], v[18:19]
	v_add_f64 v[78:79], v[36:37], -v[16:17]
	v_add_f64 v[80:81], v[38:39], -v[18:19]
	s_mov_b32 s28, 0x42a4c3d2
	s_mov_b32 s34, 0x66966769
	;; [unrolled: 1-line block ×12, first 2 shown]
	v_add_f64 v[52:53], v[48:49], v[0:1]
	v_add_f64 v[54:55], v[50:51], v[2:3]
	;; [unrolled: 1-line block ×3, first 2 shown]
	v_add_f64 v[66:67], v[44:45], -v[4:5]
	v_add_f64 v[68:69], v[46:47], -v[6:7]
	v_add_f64 v[82:83], v[32:33], v[20:21]
	v_add_f64 v[84:85], v[32:33], -v[20:21]
	v_add_f64 v[86:87], v[34:35], -v[22:23]
	s_mov_b32 s2, 0xe00740e9
	s_mov_b32 s4, 0x1ea71119
	;; [unrolled: 1-line block ×10, first 2 shown]
	v_add_f64 v[64:65], v[56:57], v[44:45]
	v_add_f64 v[58:59], v[58:59], v[46:47]
	;; [unrolled: 1-line block ×3, first 2 shown]
	v_mul_f64 v[92:93], v[62:63], s[10:11]
	v_mul_f64 v[94:95], v[60:61], s[10:11]
	;; [unrolled: 1-line block ×12, first 2 shown]
	s_mov_b32 s17, 0xbfe7f3cc
	s_mov_b32 s21, 0xbfef11f4
	s_mov_b32 s37, 0x3fe5384d
	s_mov_b32 s27, 0x3fefc445
	s_mov_b32 s36, s22
	s_mov_b32 s26, s34
	s_mov_b32 s11, 0x3fddbe06
	v_add_f64 v[48:49], v[46:47], v[6:7]
	v_add_f64 v[56:57], v[40:41], v[12:13]
	;; [unrolled: 1-line block ×3, first 2 shown]
	v_add_f64 v[70:71], v[40:41], -v[12:13]
	v_add_f64 v[72:73], v[42:43], -v[14:15]
	;; [unrolled: 1-line block ×4, first 2 shown]
	v_mul_f64 v[112:113], v[68:69], s[28:29]
	v_mul_f64 v[114:115], v[66:67], s[28:29]
	;; [unrolled: 1-line block ×9, first 2 shown]
	v_add_f64 v[64:65], v[64:65], v[40:41]
	v_add_f64 v[58:59], v[58:59], v[42:43]
	;; [unrolled: 1-line block ×4, first 2 shown]
	v_mul_f64 v[131:132], v[66:67], s[26:27]
	v_mul_f64 v[68:69], v[68:69], s[10:11]
	;; [unrolled: 1-line block ×3, first 2 shown]
	v_fma_f64 v[191:192], v[52:53], s[4:5], -v[96:97]
	v_fma_f64 v[193:194], v[54:55], s[4:5], v[98:99]
	v_fma_f64 v[96:97], v[52:53], s[4:5], v[96:97]
	v_fma_f64 v[98:99], v[54:55], s[4:5], -v[98:99]
	v_fma_f64 v[195:196], v[52:53], s[6:7], -v[100:101]
	v_fma_f64 v[197:198], v[54:55], s[6:7], v[102:103]
	v_fma_f64 v[100:101], v[52:53], s[6:7], v[100:101]
	v_fma_f64 v[102:103], v[54:55], s[6:7], -v[102:103]
	;; [unrolled: 4-line block ×4, first 2 shown]
	v_fma_f64 v[209:210], v[52:53], s[20:21], -v[62:63]
	v_fma_f64 v[211:212], v[54:55], s[20:21], v[60:61]
	s_mov_b32 s41, 0x3fedeba7
	s_mov_b32 s40, s18
	v_mul_f64 v[133:134], v[72:73], s[34:35]
	v_mul_f64 v[135:136], v[70:71], s[34:35]
	;; [unrolled: 1-line block ×8, first 2 shown]
	v_fma_f64 v[213:214], v[50:51], s[8:9], -v[116:117]
	v_fma_f64 v[215:216], v[48:49], s[8:9], v[118:119]
	v_fma_f64 v[116:117], v[50:51], s[8:9], v[116:117]
	v_add_f64 v[36:37], v[64:65], v[36:37]
	v_add_f64 v[38:39], v[58:59], v[38:39]
	v_mul_f64 v[58:59], v[70:71], s[24:25]
	v_mul_f64 v[64:65], v[72:73], s[40:41]
	;; [unrolled: 1-line block ×4, first 2 shown]
	v_fma_f64 v[118:119], v[48:49], s[8:9], -v[118:119]
	v_fma_f64 v[217:218], v[50:51], s[20:21], -v[120:121]
	v_fma_f64 v[219:220], v[48:49], s[20:21], v[122:123]
	v_fma_f64 v[120:121], v[50:51], s[20:21], v[120:121]
	v_fma_f64 v[122:123], v[48:49], s[20:21], -v[122:123]
	v_fma_f64 v[221:222], v[50:51], s[6:7], -v[129:130]
	v_fma_f64 v[223:224], v[48:49], s[6:7], v[131:132]
	v_fma_f64 v[129:130], v[50:51], s[6:7], v[129:130]
	v_fma_f64 v[131:132], v[48:49], s[6:7], -v[131:132]
	v_add_f64 v[191:192], v[8:9], v[191:192]
	v_add_f64 v[193:194], v[10:11], v[193:194]
	;; [unrolled: 1-line block ×18, first 2 shown]
	s_mov_b32 s39, 0x3fcea1e5
	s_mov_b32 s31, 0x3fea55e2
	;; [unrolled: 1-line block ×4, first 2 shown]
	v_mul_f64 v[149:150], v[80:81], s[18:19]
	v_add_f64 v[32:33], v[36:37], v[32:33]
	v_add_f64 v[34:35], v[38:39], v[34:35]
	v_fma_f64 v[36:37], v[52:53], s[2:3], -v[92:93]
	v_fma_f64 v[38:39], v[54:55], s[2:3], v[94:95]
	v_fma_f64 v[92:93], v[52:53], s[2:3], v[92:93]
	v_fma_f64 v[94:95], v[54:55], s[2:3], -v[94:95]
	v_fma_f64 v[52:53], v[52:53], s[20:21], v[62:63]
	v_fma_f64 v[54:55], v[54:55], s[20:21], -v[60:61]
	v_fma_f64 v[60:61], v[50:51], s[4:5], -v[112:113]
	v_fma_f64 v[62:63], v[48:49], s[4:5], v[114:115]
	v_fma_f64 v[112:113], v[50:51], s[4:5], v[112:113]
	v_fma_f64 v[114:115], v[48:49], s[4:5], -v[114:115]
	v_mul_f64 v[151:152], v[78:79], s[18:19]
	v_mul_f64 v[153:154], v[80:81], s[36:37]
	;; [unrolled: 1-line block ×12, first 2 shown]
	v_fma_f64 v[225:226], v[56:57], s[6:7], -v[133:134]
	v_fma_f64 v[227:228], v[46:47], s[6:7], v[135:136]
	v_fma_f64 v[133:134], v[56:57], s[6:7], v[133:134]
	v_fma_f64 v[135:136], v[46:47], s[6:7], -v[135:136]
	v_fma_f64 v[229:230], v[56:57], s[20:21], -v[137:138]
	v_fma_f64 v[231:232], v[46:47], s[20:21], v[58:59]
	v_fma_f64 v[137:138], v[56:57], s[20:21], v[137:138]
	v_fma_f64 v[58:59], v[46:47], s[20:21], -v[58:59]
	;; [unrolled: 4-line block ×3, first 2 shown]
	v_fma_f64 v[237:238], v[56:57], s[4:5], -v[141:142]
	v_fma_f64 v[239:240], v[46:47], s[4:5], v[143:144]
	v_add_f64 v[28:29], v[32:33], v[28:29]
	v_add_f64 v[30:31], v[34:35], v[30:31]
	v_fma_f64 v[32:33], v[50:51], s[16:17], -v[124:125]
	v_fma_f64 v[34:35], v[48:49], s[16:17], v[126:127]
	v_fma_f64 v[124:125], v[50:51], s[16:17], v[124:125]
	v_fma_f64 v[126:127], v[48:49], s[16:17], -v[126:127]
	v_add_f64 v[36:37], v[8:9], v[36:37]
	v_add_f64 v[38:39], v[10:11], v[38:39]
	;; [unrolled: 1-line block ×6, first 2 shown]
	v_fma_f64 v[54:55], v[50:51], s[2:3], -v[68:69]
	v_fma_f64 v[50:51], v[50:51], s[2:3], v[68:69]
	v_fma_f64 v[68:69], v[48:49], s[2:3], v[66:67]
	v_fma_f64 v[48:49], v[48:49], s[2:3], -v[66:67]
	v_fma_f64 v[141:142], v[56:57], s[4:5], v[141:142]
	v_fma_f64 v[143:144], v[46:47], s[4:5], -v[143:144]
	v_fma_f64 v[241:242], v[56:57], s[16:17], -v[145:146]
	v_fma_f64 v[243:244], v[46:47], s[16:17], v[147:148]
	v_fma_f64 v[145:146], v[56:57], s[16:17], v[145:146]
	v_fma_f64 v[147:148], v[46:47], s[16:17], -v[147:148]
	v_fma_f64 v[66:67], v[56:57], s[2:3], -v[72:73]
	v_fma_f64 v[56:57], v[56:57], s[2:3], v[72:73]
	v_fma_f64 v[72:73], v[46:47], s[2:3], v[70:71]
	v_fma_f64 v[46:47], v[46:47], s[2:3], -v[70:71]
	v_add_f64 v[191:192], v[213:214], v[191:192]
	v_add_f64 v[193:194], v[215:216], v[193:194]
	;; [unrolled: 1-line block ×10, first 2 shown]
	v_mul_f64 v[169:170], v[86:87], s[22:23]
	v_mul_f64 v[171:172], v[84:85], s[22:23]
	v_add_f64 v[24:25], v[28:29], v[24:25]
	v_add_f64 v[26:27], v[30:31], v[26:27]
	v_mul_f64 v[175:176], v[84:85], s[26:27]
	v_mul_f64 v[177:178], v[86:87], s[28:29]
	;; [unrolled: 1-line block ×4, first 2 shown]
	v_add_f64 v[36:37], v[60:61], v[36:37]
	v_add_f64 v[38:39], v[62:63], v[38:39]
	;; [unrolled: 1-line block ×4, first 2 shown]
	v_mul_f64 v[183:184], v[84:85], s[38:39]
	v_mul_f64 v[185:186], v[86:87], s[18:19]
	v_add_f64 v[54:55], v[54:55], v[209:210]
	v_add_f64 v[8:9], v[50:51], v[8:9]
	;; [unrolled: 1-line block ×4, first 2 shown]
	v_mul_f64 v[187:188], v[84:85], s[18:19]
	v_mul_f64 v[86:87], v[86:87], s[10:11]
	;; [unrolled: 1-line block ×3, first 2 shown]
	v_fma_f64 v[245:246], v[74:75], s[8:9], -v[149:150]
	v_fma_f64 v[247:248], v[76:77], s[8:9], v[151:152]
	v_fma_f64 v[149:150], v[74:75], s[8:9], v[149:150]
	v_fma_f64 v[151:152], v[76:77], s[8:9], -v[151:152]
	v_fma_f64 v[249:250], v[74:75], s[16:17], -v[153:154]
	v_fma_f64 v[251:252], v[76:77], s[16:17], v[155:156]
	v_fma_f64 v[153:154], v[74:75], s[16:17], v[153:154]
	v_fma_f64 v[155:156], v[76:77], s[16:17], -v[155:156]
	;; [unrolled: 4-line block ×4, first 2 shown]
	v_fma_f64 v[60:61], v[74:75], s[4:5], -v[165:166]
	v_fma_f64 v[62:63], v[76:77], s[4:5], v[167:168]
	v_fma_f64 v[165:166], v[74:75], s[4:5], v[165:166]
	v_add_f64 v[20:21], v[24:25], v[20:21]
	v_add_f64 v[22:23], v[26:27], v[22:23]
	v_add_f64 v[24:25], v[32:33], v[199:200]
	v_add_f64 v[26:27], v[34:35], v[203:204]
	v_add_f64 v[32:33], v[124:125], v[104:105]
	v_add_f64 v[34:35], v[126:127], v[106:107]
	v_add_f64 v[104:105], v[221:222], v[205:206]
	v_add_f64 v[106:107], v[223:224], v[207:208]
	v_fma_f64 v[167:168], v[76:77], s[4:5], -v[167:168]
	v_fma_f64 v[120:121], v[82:83], s[6:7], -v[173:174]
	v_fma_f64 v[124:125], v[82:83], s[6:7], v[173:174]
	v_fma_f64 v[173:174], v[74:75], s[2:3], -v[80:81]
	v_fma_f64 v[74:75], v[74:75], s[2:3], v[80:81]
	v_fma_f64 v[80:81], v[76:77], s[2:3], v[78:79]
	v_fma_f64 v[76:77], v[76:77], s[2:3], -v[78:79]
	v_add_f64 v[36:37], v[225:226], v[36:37]
	v_add_f64 v[38:39], v[227:228], v[38:39]
	;; [unrolled: 1-line block ×15, first 2 shown]
	v_mul_f64 v[189:190], v[90:91], s[24:25]
	v_fma_f64 v[112:113], v[82:83], s[16:17], -v[169:170]
	v_fma_f64 v[114:115], v[44:45], s[16:17], v[171:172]
	v_fma_f64 v[169:170], v[82:83], s[16:17], v[169:170]
	v_fma_f64 v[50:51], v[44:45], s[16:17], -v[171:172]
	v_fma_f64 v[122:123], v[44:45], s[6:7], v[175:176]
	v_fma_f64 v[126:127], v[44:45], s[6:7], -v[175:176]
	v_fma_f64 v[129:130], v[82:83], s[4:5], -v[177:178]
	v_add_f64 v[16:17], v[20:21], v[16:17]
	v_add_f64 v[18:19], v[22:23], v[18:19]
	v_add_f64 v[20:21], v[66:67], v[24:25]
	v_add_f64 v[22:23], v[72:73], v[26:27]
	v_add_f64 v[24:25], v[56:57], v[32:33]
	v_add_f64 v[26:27], v[46:47], v[34:35]
	v_add_f64 v[32:33], v[237:238], v[104:105]
	v_add_f64 v[34:35], v[239:240], v[106:107]
	v_add_f64 v[46:47], v[141:142], v[108:109]
	v_add_f64 v[56:57], v[143:144], v[110:111]
	v_add_f64 v[66:67], v[243:244], v[68:69]
	v_fma_f64 v[131:132], v[44:45], s[4:5], v[179:180]
	v_fma_f64 v[171:172], v[82:83], s[4:5], v[177:178]
	v_fma_f64 v[68:69], v[44:45], s[4:5], -v[179:180]
	v_fma_f64 v[72:73], v[82:83], s[20:21], -v[181:182]
	v_fma_f64 v[102:103], v[44:45], s[20:21], v[183:184]
	v_fma_f64 v[104:105], v[82:83], s[20:21], v[181:182]
	v_fma_f64 v[106:107], v[44:45], s[20:21], -v[183:184]
	v_fma_f64 v[108:109], v[82:83], s[8:9], -v[185:186]
	v_fma_f64 v[110:111], v[44:45], s[8:9], v[187:188]
	v_fma_f64 v[118:119], v[82:83], s[8:9], v[185:186]
	v_fma_f64 v[133:134], v[82:83], s[2:3], -v[86:87]
	v_fma_f64 v[135:136], v[44:45], s[2:3], v[84:85]
	v_fma_f64 v[82:83], v[82:83], s[2:3], v[86:87]
	v_fma_f64 v[84:85], v[44:45], s[2:3], -v[84:85]
	v_add_f64 v[36:37], v[245:246], v[36:37]
	v_add_f64 v[38:39], v[247:248], v[38:39]
	;; [unrolled: 1-line block ×25, first 2 shown]
	v_mul_f64 v[46:47], v[88:89], s[24:25]
	v_mul_f64 v[52:53], v[90:91], s[22:23]
	;; [unrolled: 1-line block ×11, first 2 shown]
	v_fma_f64 v[44:45], v[44:45], s[8:9], -v[187:188]
	v_add_f64 v[10:11], v[167:168], v[10:11]
	v_add_f64 v[36:37], v[112:113], v[36:37]
	;; [unrolled: 1-line block ×26, first 2 shown]
	v_fma_f64 v[32:33], v[42:43], s[20:21], -v[189:190]
	v_fma_f64 v[34:35], v[40:41], s[20:21], v[46:47]
	v_fma_f64 v[64:65], v[42:43], s[20:21], v[189:190]
	v_fma_f64 v[46:47], v[40:41], s[20:21], -v[46:47]
	v_fma_f64 v[72:73], v[42:43], s[2:3], -v[60:61]
	v_fma_f64 v[74:75], v[40:41], s[2:3], v[62:63]
	v_fma_f64 v[60:61], v[42:43], s[2:3], v[60:61]
	v_fma_f64 v[62:63], v[40:41], s[2:3], -v[62:63]
	;; [unrolled: 4-line block ×6, first 2 shown]
	v_add_f64 v[10:11], v[44:45], v[10:11]
	s_load_b64 s[2:3], s[0:1], 0x8
	v_add_f64 v[40:41], v[4:5], v[0:1]
	v_add_f64 v[42:43], v[6:7], v[2:3]
	v_mul_lo_u16 v205, v202, 13
	s_waitcnt lgkmcnt(0)
	s_barrier
	buffer_gl0_inv
	v_add_f64 v[56:57], v[32:33], v[36:37]
	v_add_f64 v[58:59], v[34:35], v[38:39]
	;; [unrolled: 1-line block ×24, first 2 shown]
	s_and_saveexec_b32 s4, vcc_lo
	s_cbranch_execz .LBB0_7
; %bb.6:
	v_and_b32_e32 v0, 0xffff, v205
	s_delay_alu instid0(VALU_DEP_1)
	v_lshlrev_b32_e32 v0, 4, v0
	ds_store_b128 v0, v[40:43]
	ds_store_b128 v0, v[56:59] offset:16
	ds_store_b128 v0, v[64:67] offset:32
	;; [unrolled: 1-line block ×12, first 2 shown]
.LBB0_7:
	s_or_b32 exec_lo, exec_lo, s4
	s_load_b64 s[4:5], s[0:1], 0x20
	v_cmp_gt_u16_e64 s0, 0x82, v202
	s_waitcnt lgkmcnt(0)
	s_barrier
	buffer_gl0_inv
	s_and_saveexec_b32 s1, s0
	s_cbranch_execz .LBB0_9
; %bb.8:
	ds_load_b128 v[40:43], v201
	ds_load_b128 v[56:59], v201 offset:2080
	ds_load_b128 v[64:67], v201 offset:4160
	ds_load_b128 v[60:63], v201 offset:6240
	ds_load_b128 v[52:55], v201 offset:8320
	ds_load_b128 v[44:47], v201 offset:10400
	ds_load_b128 v[48:51], v201 offset:12480
	ds_load_b128 v[68:71], v201 offset:14560
	ds_load_b128 v[72:75], v201 offset:16640
	ds_load_b128 v[84:87], v201 offset:18720
	ds_load_b128 v[88:91], v201 offset:20800
.LBB0_9:
	s_or_b32 exec_lo, exec_lo, s1
	v_and_b32_e32 v0, 0xff, v202
	s_mov_b32 s6, 0xf8bb580b
	s_mov_b32 s7, 0xbfe14ced
	;; [unrolled: 1-line block ×4, first 2 shown]
	v_mul_lo_u16 v0, 0x4f, v0
	s_mov_b32 s9, 0x3feaeb8c
	s_mov_b32 s11, 0xbfed1bb4
	;; [unrolled: 1-line block ×4, first 2 shown]
	v_lshrrev_b16 v165, 10, v0
	s_mov_b32 s17, 0x3fda9628
	s_mov_b32 s19, 0xbfefac9e
	;; [unrolled: 1-line block ×4, first 2 shown]
	v_mul_lo_u16 v0, v165, 13
	s_mov_b32 s23, 0xbfc2375f
	s_mov_b32 s21, 0xbfe82f19
	;; [unrolled: 1-line block ×4, first 2 shown]
	v_sub_nc_u16 v0, v202, v0
	s_mov_b32 s25, 0xbfe4f49e
	s_mov_b32 s27, 0xbfd207e7
	;; [unrolled: 1-line block ×4, first 2 shown]
	v_and_b32_e32 v203, 0xff, v0
	v_and_b32_e32 v204, 0xffff, v165
	s_delay_alu instid0(VALU_DEP_2) | instskip(NEXT) | instid1(VALU_DEP_1)
	v_mul_u32_u24_e32 v0, 10, v203
	v_lshlrev_b32_e32 v32, 4, v0
	s_clause 0x9
	global_load_b128 v[0:3], v32, s[2:3]
	global_load_b128 v[4:7], v32, s[2:3] offset:144
	global_load_b128 v[8:11], v32, s[2:3] offset:16
	;; [unrolled: 1-line block ×9, first 2 shown]
	s_waitcnt vmcnt(0) lgkmcnt(0)
	s_barrier
	buffer_gl0_inv
	v_mul_f64 v[92:93], v[58:59], v[2:3]
	v_mul_f64 v[94:95], v[56:57], v[2:3]
	;; [unrolled: 1-line block ×8, first 2 shown]
	v_fma_f64 v[122:123], v[56:57], v[0:1], -v[92:93]
	v_fma_f64 v[139:140], v[58:59], v[0:1], v[94:95]
	v_fma_f64 v[58:59], v[90:91], v[4:5], v[96:97]
	v_fma_f64 v[56:57], v[88:89], v[4:5], -v[98:99]
	v_mul_f64 v[90:91], v[62:63], v[18:19]
	v_mul_f64 v[92:93], v[60:61], v[18:19]
	;; [unrolled: 1-line block ×4, first 2 shown]
	v_fma_f64 v[126:127], v[64:65], v[8:9], -v[100:101]
	v_fma_f64 v[133:134], v[66:67], v[8:9], v[102:103]
	v_fma_f64 v[66:67], v[86:87], v[12:13], v[106:107]
	v_fma_f64 v[64:65], v[84:85], v[12:13], -v[104:105]
	v_mul_f64 v[84:85], v[54:55], v[26:27]
	v_mul_f64 v[86:87], v[52:53], v[26:27]
	;; [unrolled: 1-line block ×6, first 2 shown]
	v_add_f64 v[108:109], v[139:140], -v[58:59]
	v_add_f64 v[88:89], v[122:123], -v[56:57]
	v_fma_f64 v[141:142], v[60:61], v[16:17], -v[90:91]
	v_fma_f64 v[145:146], v[62:63], v[16:17], v[92:93]
	v_fma_f64 v[60:61], v[72:73], v[20:21], -v[94:95]
	v_fma_f64 v[62:63], v[74:75], v[20:21], v[96:97]
	v_add_f64 v[72:73], v[122:123], v[56:57]
	v_add_f64 v[120:121], v[139:140], v[58:59]
	v_add_f64 v[114:115], v[133:134], -v[66:67]
	v_add_f64 v[92:93], v[126:127], -v[64:65]
	v_mul_f64 v[74:75], v[46:47], v[38:39]
	v_mul_f64 v[90:91], v[44:45], v[38:39]
	v_fma_f64 v[135:136], v[52:53], v[24:25], -v[84:85]
	v_fma_f64 v[137:138], v[54:55], v[24:25], v[86:87]
	v_fma_f64 v[52:53], v[68:69], v[28:29], -v[100:101]
	v_fma_f64 v[54:55], v[70:71], v[28:29], v[102:103]
	v_add_f64 v[94:95], v[126:127], v[64:65]
	v_add_f64 v[131:132], v[133:134], v[66:67]
	v_fma_f64 v[102:103], v[48:49], v[32:33], -v[104:105]
	v_fma_f64 v[106:107], v[50:51], v[32:33], v[106:107]
	v_mul_f64 v[96:97], v[108:109], s[6:7]
	v_mul_f64 v[98:99], v[88:89], s[6:7]
	v_add_f64 v[68:69], v[141:142], -v[60:61]
	v_add_f64 v[143:144], v[145:146], -v[62:63]
	v_add_f64 v[147:148], v[145:146], v[62:63]
	v_mul_f64 v[116:117], v[114:115], s[10:11]
	v_mul_f64 v[118:119], v[92:93], s[10:11]
	v_fma_f64 v[124:125], v[44:45], v[36:37], -v[74:75]
	v_fma_f64 v[129:130], v[46:47], v[36:37], v[90:91]
	v_add_f64 v[90:91], v[141:142], v[60:61]
	v_add_f64 v[48:49], v[135:136], -v[52:53]
	v_add_f64 v[149:150], v[137:138], -v[54:55]
	v_add_f64 v[50:51], v[135:136], v[52:53]
	v_add_f64 v[151:152], v[137:138], v[54:55]
	v_fma_f64 v[70:71], v[72:73], s[8:9], v[96:97]
	v_fma_f64 v[84:85], v[120:121], s[8:9], -v[98:99]
	v_mul_f64 v[112:113], v[68:69], s[18:19]
	v_mul_f64 v[110:111], v[143:144], s[18:19]
	v_fma_f64 v[46:47], v[94:95], s[16:17], v[116:117]
	v_fma_f64 v[74:75], v[131:132], s[16:17], -v[118:119]
	v_add_f64 v[44:45], v[124:125], -v[102:103]
	v_add_f64 v[153:154], v[129:130], -v[106:107]
	v_add_f64 v[155:156], v[129:130], v[106:107]
	v_mul_f64 v[104:105], v[48:49], s[20:21]
	v_mul_f64 v[100:101], v[149:150], s[20:21]
	v_add_f64 v[70:71], v[40:41], v[70:71]
	v_add_f64 v[84:85], v[42:43], v[84:85]
	v_fma_f64 v[157:158], v[147:148], s[22:23], -v[112:113]
	v_fma_f64 v[86:87], v[90:91], s[22:23], v[110:111]
	v_fma_f64 v[163:164], v[151:152], s[24:25], -v[104:105]
	v_fma_f64 v[161:162], v[50:51], s[24:25], v[100:101]
	v_add_f64 v[159:160], v[46:47], v[70:71]
	v_add_f64 v[84:85], v[74:75], v[84:85]
	;; [unrolled: 1-line block ×3, first 2 shown]
	v_mul_f64 v[70:71], v[153:154], s[26:27]
	v_mul_f64 v[74:75], v[44:45], s[26:27]
	v_add_f64 v[86:87], v[86:87], v[159:160]
	v_add_f64 v[84:85], v[157:158], v[84:85]
	s_delay_alu instid0(VALU_DEP_4) | instskip(NEXT) | instid1(VALU_DEP_4)
	v_fma_f64 v[157:158], v[46:47], s[28:29], v[70:71]
	v_fma_f64 v[159:160], v[155:156], s[28:29], -v[74:75]
	s_delay_alu instid0(VALU_DEP_4) | instskip(NEXT) | instid1(VALU_DEP_4)
	v_add_f64 v[86:87], v[161:162], v[86:87]
	v_add_f64 v[161:162], v[163:164], v[84:85]
	s_delay_alu instid0(VALU_DEP_2) | instskip(NEXT) | instid1(VALU_DEP_2)
	v_add_f64 v[84:85], v[157:158], v[86:87]
	v_add_f64 v[86:87], v[159:160], v[161:162]
	s_and_saveexec_b32 s1, s0
	s_cbranch_execz .LBB0_11
; %bb.10:
	v_add_f64 v[139:140], v[42:43], v[139:140]
	v_add_f64 v[122:123], v[40:41], v[122:123]
	v_mul_f64 v[177:178], v[120:121], s[28:29]
	v_mul_f64 v[183:184], v[108:109], s[26:27]
	;; [unrolled: 1-line block ×7, first 2 shown]
	s_mov_b32 s35, 0x3fefac9e
	s_mov_b32 s34, s18
	;; [unrolled: 1-line block ×8, first 2 shown]
	v_mul_f64 v[157:158], v[94:95], s[16:17]
	v_mul_f64 v[159:160], v[131:132], s[16:17]
	;; [unrolled: 1-line block ×10, first 2 shown]
	s_mov_b32 s39, 0x3fed1bb4
	s_mov_b32 s38, s10
	v_mul_f64 v[161:162], v[90:91], s[22:23]
	v_mul_f64 v[173:174], v[147:148], s[24:25]
	;; [unrolled: 1-line block ×9, first 2 shown]
	v_add_f64 v[133:134], v[139:140], v[133:134]
	v_add_f64 v[122:123], v[122:123], v[126:127]
	v_mul_f64 v[139:140], v[120:121], s[8:9]
	v_mul_f64 v[120:121], v[120:121], s[16:17]
	;; [unrolled: 1-line block ×3, first 2 shown]
	v_fma_f64 v[230:231], v[88:89], s[40:41], v[177:178]
	v_fma_f64 v[232:233], v[72:73], s[28:29], v[183:184]
	;; [unrolled: 1-line block ×5, first 2 shown]
	v_fma_f64 v[242:243], v[72:73], s[16:17], -v[195:196]
	v_fma_f64 v[177:178], v[88:89], s[26:27], v[177:178]
	v_fma_f64 v[185:186], v[88:89], s[20:21], v[185:186]
	v_fma_f64 v[244:245], v[72:73], s[22:23], -v[108:109]
	v_fma_f64 v[183:184], v[72:73], s[28:29], -v[183:184]
	;; [unrolled: 1-line block ×3, first 2 shown]
	v_fma_f64 v[193:194], v[88:89], s[34:35], v[193:194]
	v_fma_f64 v[108:109], v[72:73], s[22:23], v[108:109]
	v_fma_f64 v[72:73], v[72:73], s[16:17], v[195:196]
	v_add_f64 v[118:119], v[118:119], v[159:160]
	v_add_f64 v[116:117], v[157:158], -v[116:117]
	v_mul_f64 v[191:192], v[151:152], s[28:29]
	v_fma_f64 v[195:196], v[92:93], s[30:31], v[131:132]
	v_mul_f64 v[206:207], v[149:150], s[26:27]
	v_fma_f64 v[157:158], v[94:95], s[8:9], v[222:223]
	v_fma_f64 v[159:160], v[94:95], s[8:9], -v[222:223]
	v_fma_f64 v[222:223], v[94:95], s[28:29], v[114:115]
	v_mul_f64 v[216:217], v[149:150], s[6:7]
	v_mul_f64 v[220:221], v[149:150], s[38:39]
	;; [unrolled: 1-line block ×3, first 2 shown]
	v_add_f64 v[110:111], v[161:162], -v[110:111]
	v_mul_f64 v[167:168], v[155:156], s[28:29]
	v_mul_f64 v[169:170], v[155:156], s[22:23]
	;; [unrolled: 1-line block ×4, first 2 shown]
	v_fma_f64 v[161:162], v[90:91], s[28:29], v[143:144]
	v_mul_f64 v[210:211], v[155:156], s[24:25]
	v_mul_f64 v[214:215], v[153:154], s[20:21]
	v_add_f64 v[133:134], v[133:134], v[145:146]
	v_add_f64 v[122:123], v[122:123], v[141:142]
	;; [unrolled: 1-line block ×3, first 2 shown]
	v_fma_f64 v[240:241], v[88:89], s[10:11], v[120:121]
	v_fma_f64 v[88:89], v[88:89], s[38:39], v[120:121]
	v_add_f64 v[96:97], v[126:127], -v[96:97]
	v_mul_f64 v[141:142], v[147:148], s[22:23]
	v_fma_f64 v[126:127], v[92:93], s[36:37], v[175:176]
	v_fma_f64 v[139:140], v[92:93], s[26:27], v[212:213]
	v_mul_f64 v[145:146], v[50:51], s[24:25]
	v_mul_f64 v[155:156], v[155:156], s[8:9]
	v_add_f64 v[177:178], v[42:43], v[177:178]
	v_add_f64 v[185:186], v[42:43], v[185:186]
	v_mul_f64 v[224:225], v[153:154], s[38:39]
	v_add_f64 v[183:184], v[40:41], v[183:184]
	v_add_f64 v[187:188], v[40:41], v[187:188]
	;; [unrolled: 1-line block ×5, first 2 shown]
	v_mul_f64 v[153:154], v[153:154], s[36:37]
	v_add_f64 v[104:105], v[104:105], v[163:164]
	v_mul_f64 v[165:166], v[46:47], s[28:29]
	v_fma_f64 v[163:164], v[50:51], s[22:23], v[149:150]
	v_add_f64 v[133:134], v[133:134], v[137:138]
	v_add_f64 v[122:123], v[122:123], v[135:136]
	v_mul_f64 v[137:138], v[147:148], s[16:17]
	v_mul_f64 v[147:148], v[147:148], s[28:29]
	v_add_f64 v[88:89], v[42:43], v[88:89]
	v_mul_f64 v[135:136], v[151:152], s[8:9]
	v_mul_f64 v[151:152], v[151:152], s[22:23]
	v_add_f64 v[112:113], v[112:113], v[141:142]
	v_fma_f64 v[141:142], v[90:91], s[16:17], v[228:229]
	v_add_f64 v[100:101], v[145:146], -v[100:101]
	v_fma_f64 v[145:146], v[50:51], s[16:17], v[220:221]
	v_add_f64 v[126:127], v[126:127], v[177:178]
	v_fma_f64 v[177:178], v[50:51], s[28:29], -v[206:207]
	v_add_f64 v[139:140], v[139:140], v[193:194]
	v_add_f64 v[108:109], v[222:223], v[108:109]
	;; [unrolled: 1-line block ×4, first 2 shown]
	v_fma_f64 v[124:125], v[92:93], s[6:7], v[175:176]
	v_fma_f64 v[129:130], v[92:93], s[18:19], v[199:200]
	;; [unrolled: 1-line block ×6, first 2 shown]
	v_fma_f64 v[131:132], v[94:95], s[24:25], -v[218:219]
	v_fma_f64 v[212:213], v[94:95], s[22:23], v[226:227]
	v_fma_f64 v[218:219], v[94:95], s[22:23], -v[226:227]
	v_fma_f64 v[94:95], v[94:95], s[28:29], -v[114:115]
	v_add_f64 v[114:115], v[42:43], v[230:231]
	v_add_f64 v[226:227], v[40:41], v[232:233]
	;; [unrolled: 1-line block ×10, first 2 shown]
	v_fma_f64 v[96:97], v[68:69], s[30:31], v[173:174]
	v_fma_f64 v[242:243], v[68:69], s[10:11], v[137:138]
	;; [unrolled: 1-line block ×4, first 2 shown]
	v_add_f64 v[88:89], v[195:196], v[88:89]
	v_add_f64 v[108:109], v[141:142], v[108:109]
	v_fma_f64 v[141:142], v[46:47], s[24:25], v[214:215]
	v_add_f64 v[98:99], v[120:121], v[106:107]
	v_add_f64 v[102:103], v[122:123], v[102:103]
	v_fma_f64 v[106:107], v[90:91], s[24:25], v[181:182]
	v_fma_f64 v[120:121], v[68:69], s[20:21], v[173:174]
	v_fma_f64 v[122:123], v[90:91], s[24:25], -v[181:182]
	v_fma_f64 v[173:174], v[68:69], s[36:37], v[197:198]
	v_fma_f64 v[181:182], v[90:91], s[8:9], v[208:209]
	;; [unrolled: 1-line block ×3, first 2 shown]
	v_fma_f64 v[208:209], v[90:91], s[8:9], -v[208:209]
	v_fma_f64 v[68:69], v[68:69], s[40:41], v[147:148]
	v_fma_f64 v[147:148], v[90:91], s[16:17], -v[228:229]
	v_fma_f64 v[90:91], v[90:91], s[28:29], -v[143:144]
	v_add_f64 v[114:115], v[124:125], v[114:115]
	v_add_f64 v[124:125], v[157:158], v[226:227]
	;; [unrolled: 1-line block ×14, first 2 shown]
	v_fma_f64 v[116:117], v[48:49], s[40:41], v[191:192]
	v_fma_f64 v[118:119], v[50:51], s[28:29], v[206:207]
	;; [unrolled: 1-line block ×5, first 2 shown]
	v_fma_f64 v[187:188], v[50:51], s[8:9], -v[216:217]
	v_add_f64 v[88:89], v[244:245], v[88:89]
	v_add_f64 v[54:55], v[98:99], v[54:55]
	v_add_f64 v[52:53], v[102:103], v[52:53]
	v_fma_f64 v[98:99], v[48:49], s[10:11], v[171:172]
	v_fma_f64 v[102:103], v[48:49], s[38:39], v[171:172]
	;; [unrolled: 1-line block ×5, first 2 shown]
	v_fma_f64 v[151:152], v[50:51], s[16:17], -v[220:221]
	v_fma_f64 v[50:51], v[50:51], s[22:23], -v[149:150]
	v_fma_f64 v[149:150], v[44:45], s[6:7], v[155:156]
	v_fma_f64 v[155:156], v[44:45], s[36:37], v[155:156]
	v_add_f64 v[96:97], v[96:97], v[114:115]
	v_add_f64 v[106:107], v[106:107], v[124:125]
	;; [unrolled: 1-line block ×16, first 2 shown]
	v_fma_f64 v[161:162], v[46:47], s[8:9], v[153:154]
	v_fma_f64 v[153:154], v[46:47], s[8:9], -v[153:154]
	v_fma_f64 v[110:111], v[44:45], s[18:19], v[169:170]
	v_fma_f64 v[112:113], v[46:47], s[22:23], -v[179:180]
	v_fma_f64 v[131:132], v[44:45], s[10:11], v[189:190]
	v_fma_f64 v[137:138], v[44:45], s[38:39], v[189:190]
	;; [unrolled: 1-line block ×4, first 2 shown]
	v_fma_f64 v[147:148], v[46:47], s[24:25], -v[214:215]
	v_add_f64 v[157:158], v[74:75], v[167:168]
	v_add_f64 v[54:55], v[54:55], v[62:63]
	v_add_f64 v[52:53], v[52:53], v[60:61]
	v_fma_f64 v[60:61], v[44:45], s[34:35], v[169:170]
	v_fma_f64 v[62:63], v[46:47], s[22:23], v[179:180]
	v_add_f64 v[159:160], v[165:166], -v[70:71]
	v_fma_f64 v[70:71], v[46:47], s[16:17], v[224:225]
	v_fma_f64 v[74:75], v[46:47], s[16:17], -v[224:225]
	v_add_f64 v[108:109], v[185:186], v[108:109]
	v_add_f64 v[88:89], v[191:192], v[88:89]
	v_add_f64 v[44:45], v[98:99], v[96:97]
	v_add_f64 v[46:47], v[145:146], v[106:107]
	v_add_f64 v[96:97], v[102:103], v[114:115]
	v_add_f64 v[106:107], v[118:119], v[124:125]
	v_add_f64 v[114:115], v[171:172], v[126:127]
	v_add_f64 v[68:69], v[48:49], v[68:69]
	v_add_f64 v[90:91], v[50:51], v[90:91]
	v_add_f64 v[118:119], v[135:136], v[133:134]
	v_add_f64 v[92:93], v[187:188], v[92:93]
	v_add_f64 v[98:99], v[151:152], v[120:121]
	v_add_f64 v[102:103], v[116:117], v[122:123]
	v_add_f64 v[116:117], v[177:178], v[129:130]
	v_add_f64 v[94:95], v[183:184], v[94:95]
	v_add_f64 v[72:73], v[163:164], v[72:73]
	v_add_f64 v[104:105], v[104:105], v[42:43]
	v_add_f64 v[100:101], v[100:101], v[40:41]
	v_add_f64 v[120:121], v[54:55], v[66:67]
	v_add_f64 v[122:123], v[52:53], v[64:65]
	v_add_f64 v[42:43], v[60:61], v[44:45]
	v_add_f64 v[40:41], v[62:63], v[46:47]
	v_add_f64 v[46:47], v[110:111], v[96:97]
	v_add_f64 v[48:49], v[70:71], v[106:107]
	v_add_f64 v[54:55], v[137:138], v[114:115]
	v_add_f64 v[66:67], v[155:156], v[68:69]
	v_add_f64 v[64:65], v[153:154], v[90:91]
	v_add_f64 v[62:63], v[143:144], v[118:119]
	v_add_f64 v[60:61], v[147:148], v[92:93]
	v_add_f64 v[44:45], v[112:113], v[98:99]
	v_add_f64 v[50:51], v[131:132], v[102:103]
	v_add_f64 v[52:53], v[74:75], v[116:117]
	v_add_f64 v[70:71], v[139:140], v[94:95]
	v_add_f64 v[68:69], v[141:142], v[108:109]
	v_add_f64 v[74:75], v[149:150], v[88:89]
	v_add_f64 v[72:73], v[161:162], v[72:73]
	v_add_f64 v[90:91], v[157:158], v[104:105]
	v_add_f64 v[88:89], v[159:160], v[100:101]
	v_mul_u32_u24_e32 v92, 0x8f, v204
	s_delay_alu instid0(VALU_DEP_1)
	v_add_lshl_u32 v92, v92, v203, 4
	v_add_f64 v[58:59], v[120:121], v[58:59]
	v_add_f64 v[56:57], v[122:123], v[56:57]
	ds_store_b128 v92, v[64:67] offset:416
	ds_store_b128 v92, v[60:63] offset:624
	;; [unrolled: 1-line block ×8, first 2 shown]
	ds_store_b128 v92, v[56:59]
	ds_store_b128 v92, v[88:91] offset:208
	ds_store_b128 v92, v[84:87] offset:2080
.LBB0_11:
	s_or_b32 exec_lo, exec_lo, s1
	v_mad_u64_u32 v[44:45], null, 0x90, v202, s[2:3]
	s_load_b128 s[4:7], s[4:5], 0x0
	s_waitcnt lgkmcnt(0)
	s_barrier
	buffer_gl0_inv
	s_mov_b32 s8, 0x134454ff
	s_mov_b32 s9, 0x3fee6f0e
	s_clause 0x8
	global_load_b128 v[60:63], v[44:45], off offset:2112
	global_load_b128 v[68:71], v[44:45], off offset:2144
	;; [unrolled: 1-line block ×9, first 2 shown]
	ds_load_b128 v[88:91], v201 offset:6864
	ds_load_b128 v[92:95], v201 offset:11440
	ds_load_b128 v[96:99], v201 offset:16016
	ds_load_b128 v[100:103], v201 offset:20592
	ds_load_b128 v[104:107], v201 offset:2288
	ds_load_b128 v[108:111], v201 offset:4576
	s_mov_b32 s3, 0xbfee6f0e
	s_mov_b32 s2, s8
	;; [unrolled: 1-line block ×10, first 2 shown]
	s_waitcnt vmcnt(8) lgkmcnt(5)
	v_mul_f64 v[112:113], v[90:91], v[62:63]
	v_mul_f64 v[114:115], v[88:89], v[62:63]
	s_waitcnt vmcnt(7) lgkmcnt(4)
	v_mul_f64 v[116:117], v[94:95], v[70:71]
	v_mul_f64 v[118:119], v[92:93], v[70:71]
	s_waitcnt vmcnt(6) lgkmcnt(3)
	v_mul_f64 v[120:121], v[96:97], v[66:67]
	s_waitcnt vmcnt(5) lgkmcnt(2)
	v_mul_f64 v[122:123], v[100:101], v[74:75]
	v_mul_f64 v[124:125], v[102:103], v[74:75]
	;; [unrolled: 1-line block ×3, first 2 shown]
	s_waitcnt vmcnt(4) lgkmcnt(1)
	v_mul_f64 v[129:130], v[106:107], v[42:43]
	v_mul_f64 v[131:132], v[104:105], v[42:43]
	v_fma_f64 v[112:113], v[88:89], v[60:61], -v[112:113]
	v_fma_f64 v[114:115], v[90:91], v[60:61], v[114:115]
	v_fma_f64 v[116:117], v[92:93], v[68:69], -v[116:117]
	v_fma_f64 v[118:119], v[94:95], v[68:69], v[118:119]
	v_fma_f64 v[120:121], v[98:99], v[64:65], v[120:121]
	;; [unrolled: 1-line block ×3, first 2 shown]
	v_fma_f64 v[100:101], v[100:101], v[72:73], -v[124:125]
	v_fma_f64 v[122:123], v[96:97], v[64:65], -v[126:127]
	ds_load_b128 v[88:91], v201 offset:9152
	ds_load_b128 v[92:95], v201 offset:13728
	;; [unrolled: 1-line block ×3, first 2 shown]
	s_waitcnt vmcnt(3) lgkmcnt(3)
	v_mul_f64 v[124:125], v[110:111], v[58:59]
	v_mul_f64 v[126:127], v[108:109], v[58:59]
	v_fma_f64 v[104:105], v[104:105], v[40:41], -v[129:130]
	v_fma_f64 v[106:107], v[106:107], v[40:41], v[131:132]
	s_waitcnt vmcnt(2) lgkmcnt(2)
	v_mul_f64 v[133:134], v[90:91], v[54:55]
	v_mul_f64 v[135:136], v[88:89], v[54:55]
	s_waitcnt vmcnt(1) lgkmcnt(1)
	v_mul_f64 v[137:138], v[94:95], v[50:51]
	s_waitcnt vmcnt(0) lgkmcnt(0)
	v_mul_f64 v[139:140], v[98:99], v[46:47]
	v_mul_f64 v[141:142], v[92:93], v[50:51]
	;; [unrolled: 1-line block ×3, first 2 shown]
	v_add_f64 v[153:154], v[112:113], -v[116:117]
	v_add_f64 v[157:158], v[116:117], -v[112:113]
	v_add_f64 v[129:130], v[118:119], v[120:121]
	v_add_f64 v[131:132], v[114:115], v[102:103]
	;; [unrolled: 1-line block ×4, first 2 shown]
	v_add_f64 v[155:156], v[100:101], -v[122:123]
	v_fma_f64 v[108:109], v[108:109], v[56:57], -v[124:125]
	v_fma_f64 v[110:111], v[110:111], v[56:57], v[126:127]
	v_add_f64 v[159:160], v[122:123], -v[100:101]
	v_add_f64 v[161:162], v[114:115], -v[118:119]
	;; [unrolled: 1-line block ×5, first 2 shown]
	v_fma_f64 v[124:125], v[88:89], v[52:53], -v[133:134]
	v_fma_f64 v[126:127], v[90:91], v[52:53], v[135:136]
	v_fma_f64 v[92:93], v[92:93], v[48:49], -v[137:138]
	v_fma_f64 v[96:97], v[96:97], v[44:45], -v[139:140]
	v_fma_f64 v[94:95], v[94:95], v[48:49], v[141:142]
	v_fma_f64 v[98:99], v[98:99], v[44:45], v[143:144]
	v_add_f64 v[133:134], v[114:115], -v[102:103]
	v_add_f64 v[135:136], v[118:119], -v[120:121]
	;; [unrolled: 1-line block ×4, first 2 shown]
	ds_load_b128 v[88:91], v201
	v_fma_f64 v[129:130], v[129:130], -0.5, v[106:107]
	v_fma_f64 v[131:132], v[131:132], -0.5, v[106:107]
	;; [unrolled: 1-line block ×4, first 2 shown]
	v_add_f64 v[104:105], v[104:105], v[112:113]
	v_add_f64 v[106:107], v[106:107], v[114:115]
	s_waitcnt lgkmcnt(0)
	v_add_f64 v[177:178], v[88:89], v[108:109]
	v_add_f64 v[183:184], v[90:91], v[110:111]
	;; [unrolled: 1-line block ×6, first 2 shown]
	v_add_f64 v[179:180], v[110:111], -v[98:99]
	v_add_f64 v[181:182], v[126:127], -v[94:95]
	;; [unrolled: 1-line block ×4, first 2 shown]
	v_fma_f64 v[169:170], v[137:138], s[2:3], v[129:130]
	v_fma_f64 v[171:172], v[139:140], s[8:9], v[131:132]
	;; [unrolled: 1-line block ×8, first 2 shown]
	v_add_f64 v[104:105], v[104:105], v[116:117]
	v_add_f64 v[106:107], v[106:107], v[118:119]
	v_fma_f64 v[112:113], v[145:146], -0.5, v[88:89]
	v_fma_f64 v[88:89], v[147:148], -0.5, v[88:89]
	;; [unrolled: 1-line block ×4, first 2 shown]
	v_add_f64 v[145:146], v[153:154], v[155:156]
	v_add_f64 v[147:148], v[157:158], v[159:160]
	;; [unrolled: 1-line block ×4, first 2 shown]
	v_add_f64 v[161:162], v[98:99], -v[94:95]
	v_add_f64 v[163:164], v[94:95], -v[98:99]
	v_fma_f64 v[153:154], v[139:140], s[10:11], v[169:170]
	v_fma_f64 v[155:156], v[137:138], s[10:11], v[171:172]
	;; [unrolled: 1-line block ×8, first 2 shown]
	v_add_f64 v[137:138], v[108:109], -v[124:125]
	v_add_f64 v[139:140], v[96:97], -v[92:93]
	v_add_f64 v[108:109], v[124:125], -v[108:109]
	v_add_f64 v[141:142], v[92:93], -v[96:97]
	v_add_f64 v[143:144], v[110:111], -v[126:127]
	v_add_f64 v[110:111], v[126:127], -v[110:111]
	v_add_f64 v[124:125], v[177:178], v[124:125]
	v_add_f64 v[126:127], v[183:184], v[126:127]
	;; [unrolled: 1-line block ×4, first 2 shown]
	v_fma_f64 v[116:117], v[179:180], s[8:9], v[112:113]
	v_fma_f64 v[112:113], v[179:180], s[2:3], v[112:113]
	;; [unrolled: 1-line block ×16, first 2 shown]
	v_add_f64 v[137:138], v[137:138], v[139:140]
	v_add_f64 v[108:109], v[108:109], v[141:142]
	;; [unrolled: 1-line block ×6, first 2 shown]
	v_fma_f64 v[116:117], v[181:182], s[16:17], v[116:117]
	v_fma_f64 v[112:113], v[181:182], s[10:11], v[112:113]
	;; [unrolled: 1-line block ×8, first 2 shown]
	v_mul_f64 v[124:125], v[153:154], s[16:17]
	v_mul_f64 v[126:127], v[155:156], s[8:9]
	;; [unrolled: 1-line block ×8, first 2 shown]
	v_add_f64 v[92:93], v[92:93], v[96:97]
	v_add_f64 v[94:95], v[94:95], v[98:99]
	;; [unrolled: 1-line block ×4, first 2 shown]
	v_fma_f64 v[161:162], v[137:138], s[18:19], v[116:117]
	v_fma_f64 v[137:138], v[137:138], s[18:19], v[112:113]
	;; [unrolled: 1-line block ×10, first 2 shown]
	v_fma_f64 v[126:127], v[131:132], s[8:9], -v[141:142]
	v_fma_f64 v[129:130], v[129:130], s[16:17], -v[143:144]
	v_fma_f64 v[131:132], v[153:154], s[20:21], v[145:146]
	v_fma_f64 v[133:134], v[155:156], s[18:19], v[147:148]
	v_fma_f64 v[135:136], v[157:158], s[2:3], -v[149:150]
	v_fma_f64 v[141:142], v[159:160], s[10:11], -v[151:152]
	v_add_f64 v[88:89], v[92:93], v[96:97]
	v_add_f64 v[90:91], v[94:95], v[98:99]
	v_add_f64 v[116:117], v[92:93], -v[96:97]
	v_add_f64 v[118:119], v[94:95], -v[98:99]
	v_add_f64 v[92:93], v[161:162], v[120:121]
	v_add_f64 v[96:97], v[112:113], v[122:123]
	;; [unrolled: 1-line block ×8, first 2 shown]
	v_add_f64 v[124:125], v[161:162], -v[120:121]
	v_add_f64 v[120:121], v[112:113], -v[122:123]
	;; [unrolled: 1-line block ×8, first 2 shown]
	ds_store_b128 v201, v[88:91]
	ds_store_b128 v201, v[92:95] offset:2288
	ds_store_b128 v201, v[96:99] offset:4576
	;; [unrolled: 1-line block ×9, first 2 shown]
	s_waitcnt lgkmcnt(0)
	s_barrier
	buffer_gl0_inv
	s_and_saveexec_b32 s2, vcc_lo
	s_cbranch_execz .LBB0_13
; %bb.12:
	v_add_co_u32 v129, s1, s14, v201
	s_delay_alu instid0(VALU_DEP_1) | instskip(NEXT) | instid1(VALU_DEP_2)
	v_add_co_ci_u32_e64 v130, null, s15, 0, s1
	v_add_co_u32 v131, s1, 0x5000, v129
	s_delay_alu instid0(VALU_DEP_1) | instskip(SKIP_1) | instid1(VALU_DEP_1)
	v_add_co_ci_u32_e64 v132, s1, 0, v130, s1
	v_add_co_u32 v139, s1, 0x5960, v129
	v_add_co_ci_u32_e64 v140, s1, 0, v130, s1
	global_load_b128 v[131:134], v[131:132], off offset:2400
	v_add_co_u32 v143, s1, 0x6000, v129
	s_clause 0x1
	global_load_b128 v[135:138], v[139:140], off offset:1760
	global_load_b128 v[139:142], v[139:140], off offset:3520
	v_add_co_ci_u32_e64 v144, s1, 0, v130, s1
	v_add_co_u32 v151, s1, 0x7000, v129
	s_delay_alu instid0(VALU_DEP_1)
	v_add_co_ci_u32_e64 v152, s1, 0, v130, s1
	s_clause 0x2
	global_load_b128 v[143:146], v[143:144], off offset:3584
	global_load_b128 v[147:150], v[151:152], off offset:1248
	;; [unrolled: 1-line block ×3, first 2 shown]
	ds_load_b128 v[155:158], v201
	ds_load_b128 v[159:162], v201 offset:1760
	s_waitcnt vmcnt(5) lgkmcnt(1)
	v_mul_f64 v[163:164], v[157:158], v[133:134]
	v_mul_f64 v[133:134], v[155:156], v[133:134]
	s_waitcnt vmcnt(4) lgkmcnt(0)
	v_mul_f64 v[165:166], v[161:162], v[137:138]
	v_mul_f64 v[137:138], v[159:160], v[137:138]
	s_delay_alu instid0(VALU_DEP_4) | instskip(NEXT) | instid1(VALU_DEP_4)
	v_fma_f64 v[155:156], v[155:156], v[131:132], -v[163:164]
	v_fma_f64 v[157:158], v[157:158], v[131:132], v[133:134]
	ds_load_b128 v[131:134], v201 offset:3520
	v_fma_f64 v[159:160], v[159:160], v[135:136], -v[165:166]
	v_fma_f64 v[161:162], v[161:162], v[135:136], v[137:138]
	ds_load_b128 v[135:138], v201 offset:5280
	s_waitcnt vmcnt(3) lgkmcnt(1)
	v_mul_f64 v[163:164], v[133:134], v[141:142]
	v_mul_f64 v[141:142], v[131:132], v[141:142]
	s_waitcnt vmcnt(2) lgkmcnt(0)
	v_mul_f64 v[165:166], v[137:138], v[145:146]
	v_mul_f64 v[145:146], v[135:136], v[145:146]
	s_delay_alu instid0(VALU_DEP_4) | instskip(NEXT) | instid1(VALU_DEP_4)
	v_fma_f64 v[131:132], v[131:132], v[139:140], -v[163:164]
	v_fma_f64 v[133:134], v[133:134], v[139:140], v[141:142]
	ds_load_b128 v[139:142], v201 offset:7040
	v_fma_f64 v[135:136], v[135:136], v[143:144], -v[165:166]
	v_fma_f64 v[137:138], v[137:138], v[143:144], v[145:146]
	ds_load_b128 v[143:146], v201 offset:8800
	v_add_co_u32 v165, s1, 0x8000, v129
	s_delay_alu instid0(VALU_DEP_1) | instskip(SKIP_1) | instid1(VALU_DEP_1)
	v_add_co_ci_u32_e64 v166, s1, 0, v130, s1
	v_add_co_u32 v179, s1, 0x9000, v129
	v_add_co_ci_u32_e64 v180, s1, 0, v130, s1
	v_add_co_u32 v129, s1, 0xa000, v129
	s_delay_alu instid0(VALU_DEP_1) | instskip(SKIP_3) | instid1(VALU_DEP_2)
	v_add_co_ci_u32_e64 v130, s1, 0, v130, s1
	s_waitcnt vmcnt(1) lgkmcnt(1)
	v_mul_f64 v[163:164], v[141:142], v[149:150]
	v_mul_f64 v[149:150], v[139:140], v[149:150]
	v_fma_f64 v[139:140], v[139:140], v[147:148], -v[163:164]
	s_delay_alu instid0(VALU_DEP_2)
	v_fma_f64 v[141:142], v[141:142], v[147:148], v[149:150]
	s_waitcnt vmcnt(0) lgkmcnt(0)
	v_mul_f64 v[163:164], v[145:146], v[153:154]
	global_load_b128 v[147:150], v[165:166], off offset:672
	v_mul_f64 v[153:154], v[143:144], v[153:154]
	v_fma_f64 v[143:144], v[143:144], v[151:152], -v[163:164]
	s_delay_alu instid0(VALU_DEP_2)
	v_fma_f64 v[145:146], v[145:146], v[151:152], v[153:154]
	global_load_b128 v[151:154], v[165:166], off offset:2432
	ds_load_b128 v[163:166], v201 offset:10560
	ds_load_b128 v[167:170], v201 offset:12320
	s_waitcnt vmcnt(1) lgkmcnt(1)
	v_mul_f64 v[171:172], v[165:166], v[149:150]
	v_mul_f64 v[149:150], v[163:164], v[149:150]
	s_delay_alu instid0(VALU_DEP_2) | instskip(NEXT) | instid1(VALU_DEP_2)
	v_fma_f64 v[163:164], v[163:164], v[147:148], -v[171:172]
	v_fma_f64 v[165:166], v[165:166], v[147:148], v[149:150]
	s_waitcnt vmcnt(0) lgkmcnt(0)
	v_mul_f64 v[147:148], v[169:170], v[153:154]
	v_mul_f64 v[149:150], v[167:168], v[153:154]
	s_delay_alu instid0(VALU_DEP_2) | instskip(NEXT) | instid1(VALU_DEP_2)
	v_fma_f64 v[147:148], v[167:168], v[151:152], -v[147:148]
	v_fma_f64 v[149:150], v[169:170], v[151:152], v[149:150]
	s_clause 0x1
	global_load_b128 v[151:154], v[179:180], off offset:96
	global_load_b128 v[167:170], v[179:180], off offset:1856
	ds_load_b128 v[171:174], v201 offset:14080
	ds_load_b128 v[175:178], v201 offset:15840
	s_waitcnt vmcnt(1) lgkmcnt(1)
	v_mul_f64 v[181:182], v[173:174], v[153:154]
	v_mul_f64 v[153:154], v[171:172], v[153:154]
	s_delay_alu instid0(VALU_DEP_2) | instskip(NEXT) | instid1(VALU_DEP_2)
	v_fma_f64 v[171:172], v[171:172], v[151:152], -v[181:182]
	v_fma_f64 v[173:174], v[173:174], v[151:152], v[153:154]
	s_waitcnt vmcnt(0) lgkmcnt(0)
	v_mul_f64 v[151:152], v[177:178], v[169:170]
	v_mul_f64 v[153:154], v[175:176], v[169:170]
	s_delay_alu instid0(VALU_DEP_2) | instskip(NEXT) | instid1(VALU_DEP_2)
	v_fma_f64 v[151:152], v[175:176], v[167:168], -v[151:152]
	v_fma_f64 v[153:154], v[177:178], v[167:168], v[153:154]
	s_clause 0x1
	global_load_b128 v[167:170], v[179:180], off offset:3616
	global_load_b128 v[175:178], v[129:130], off offset:1280
	ds_load_b128 v[179:182], v201 offset:17600
	ds_load_b128 v[183:186], v201 offset:19360
	s_waitcnt vmcnt(1) lgkmcnt(1)
	v_mul_f64 v[187:188], v[181:182], v[169:170]
	v_mul_f64 v[169:170], v[179:180], v[169:170]
	s_delay_alu instid0(VALU_DEP_2) | instskip(NEXT) | instid1(VALU_DEP_2)
	v_fma_f64 v[179:180], v[179:180], v[167:168], -v[187:188]
	v_fma_f64 v[181:182], v[181:182], v[167:168], v[169:170]
	s_waitcnt vmcnt(0) lgkmcnt(0)
	v_mul_f64 v[167:168], v[185:186], v[177:178]
	v_mul_f64 v[169:170], v[183:184], v[177:178]
	s_delay_alu instid0(VALU_DEP_2) | instskip(NEXT) | instid1(VALU_DEP_2)
	v_fma_f64 v[167:168], v[183:184], v[175:176], -v[167:168]
	v_fma_f64 v[169:170], v[185:186], v[175:176], v[169:170]
	global_load_b128 v[175:178], v[129:130], off offset:3040
	ds_load_b128 v[183:186], v201 offset:21120
	s_waitcnt vmcnt(0) lgkmcnt(0)
	v_mul_f64 v[129:130], v[185:186], v[177:178]
	v_mul_f64 v[177:178], v[183:184], v[177:178]
	s_delay_alu instid0(VALU_DEP_2) | instskip(NEXT) | instid1(VALU_DEP_2)
	v_fma_f64 v[183:184], v[183:184], v[175:176], -v[129:130]
	v_fma_f64 v[185:186], v[185:186], v[175:176], v[177:178]
	ds_store_b128 v201, v[155:158]
	ds_store_b128 v201, v[159:162] offset:1760
	ds_store_b128 v201, v[131:134] offset:3520
	;; [unrolled: 1-line block ×12, first 2 shown]
.LBB0_13:
	s_or_b32 exec_lo, exec_lo, s2
	s_waitcnt lgkmcnt(0)
	s_barrier
	buffer_gl0_inv
	s_and_saveexec_b32 s1, vcc_lo
	s_cbranch_execz .LBB0_15
; %bb.14:
	ds_load_b128 v[88:91], v201
	ds_load_b128 v[92:95], v201 offset:1760
	ds_load_b128 v[96:99], v201 offset:3520
	;; [unrolled: 1-line block ×12, first 2 shown]
.LBB0_15:
	s_or_b32 exec_lo, exec_lo, s1
	s_waitcnt lgkmcnt(11)
	v_add_f64 v[129:130], v[88:89], v[92:93]
	v_add_f64 v[131:132], v[90:91], v[94:95]
	s_waitcnt lgkmcnt(5)
	v_add_f64 v[133:134], v[124:125], -v[120:121]
	v_add_f64 v[139:140], v[126:127], -v[122:123]
	s_waitcnt lgkmcnt(2)
	v_add_f64 v[141:142], v[100:101], v[84:85]
	v_add_f64 v[206:207], v[100:101], -v[84:85]
	s_waitcnt lgkmcnt(0)
	v_add_f64 v[214:215], v[94:95], -v[78:79]
	s_mov_b32 s28, 0x4267c47c
	s_mov_b32 s29, 0xbfddbe06
	v_add_f64 v[143:144], v[102:103], v[86:87]
	v_add_f64 v[208:209], v[102:103], -v[86:87]
	v_add_f64 v[155:156], v[96:97], v[80:81]
	v_add_f64 v[210:211], v[96:97], -v[80:81]
	v_add_f64 v[212:213], v[98:99], -v[82:83]
	v_add_f64 v[191:192], v[92:93], v[76:77]
	s_mov_b32 s2, 0xe00740e9
	s_mov_b32 s22, 0x42a4c3d2
	s_mov_b32 s3, 0x3fec55a7
	s_mov_b32 s23, 0xbfea55e2
	v_add_f64 v[157:158], v[98:99], v[82:83]
	v_add_f64 v[216:217], v[92:93], -v[76:77]
	s_mov_b32 s20, 0x1ea71119
	s_mov_b32 s21, 0x3fe22d96
	v_add_f64 v[193:194], v[94:95], v[78:79]
	s_mov_b32 s24, 0x66966769
	s_mov_b32 s25, 0xbfefc445
	s_mov_b32 s8, 0xebaa3ed8
	s_mov_b32 s9, 0x3fbedb7d
	s_mov_b32 s26, 0x2ef20147
	s_mov_b32 s27, 0xbfedeba7
	s_mov_b32 s18, 0xb2365da1
	s_mov_b32 s19, 0xbfd6b1d8
	s_mov_b32 s30, 0x24c2f84
	s_mov_b32 s31, 0xbfe5384d
	s_mov_b32 s16, 0xd0032e0c
	s_mov_b32 s17, 0xbfe7f3cc
	s_mov_b32 s34, 0x4bc48dbf
	s_mov_b32 s35, 0xbfcea1e5
	v_add_f64 v[129:130], v[129:130], v[96:97]
	v_add_f64 v[131:132], v[131:132], v[98:99]
	s_mov_b32 s10, 0x93053d00
	v_mul_f64 v[147:148], v[139:140], s[34:35]
	s_mov_b32 s11, 0xbfef11f4
	v_mul_f64 v[165:166], v[206:207], s[24:25]
	v_mul_f64 v[167:168], v[214:215], s[28:29]
	;; [unrolled: 1-line block ×11, first 2 shown]
	s_mov_b32 s41, 0x3fe5384d
	s_mov_b32 s40, s30
	;; [unrolled: 1-line block ×4, first 2 shown]
	v_mul_f64 v[171:172], v[216:217], s[28:29]
	v_mul_f64 v[199:200], v[216:217], s[22:23]
	s_mov_b32 s39, 0x3fddbe06
	s_mov_b32 s38, s28
	v_mul_f64 v[96:97], v[214:215], s[24:25]
	v_mul_f64 v[175:176], v[139:140], s[38:39]
	;; [unrolled: 1-line block ×4, first 2 shown]
	s_mov_b32 s47, 0x3fcea1e5
	s_mov_b32 s46, s34
	s_mov_b32 s43, 0x3fedeba7
	s_mov_b32 s42, s26
	s_mov_b32 s45, 0x3fea55e2
	s_mov_b32 s44, s22
	s_barrier
	buffer_gl0_inv
	v_add_f64 v[129:130], v[129:130], v[100:101]
	v_add_f64 v[131:132], v[131:132], v[102:103]
	v_mul_f64 v[100:101], v[193:194], s[8:9]
	v_mul_f64 v[102:103], v[157:158], s[10:11]
	v_fma_f64 v[92:93], v[157:158], s[18:19], -v[195:196]
	v_fma_f64 v[94:95], v[155:156], s[10:11], v[98:99]
	v_fma_f64 v[98:99], v[155:156], s[10:11], -v[98:99]
	v_add_f64 v[129:130], v[129:130], v[104:105]
	v_add_f64 v[131:132], v[131:132], v[106:107]
	s_delay_alu instid0(VALU_DEP_2) | instskip(NEXT) | instid1(VALU_DEP_2)
	v_add_f64 v[129:130], v[129:130], v[116:117]
	v_add_f64 v[131:132], v[131:132], v[118:119]
	s_delay_alu instid0(VALU_DEP_2) | instskip(NEXT) | instid1(VALU_DEP_2)
	v_add_f64 v[135:136], v[129:130], v[124:125]
	v_add_f64 v[137:138], v[131:132], v[126:127]
	;; [unrolled: 1-line block ×8, first 2 shown]
	v_add_f64 v[120:121], v[116:117], -v[112:113]
	v_add_f64 v[116:117], v[118:119], -v[114:115]
	v_add_f64 v[137:138], v[106:107], v[110:111]
	v_add_f64 v[118:119], v[106:107], -v[110:111]
	v_add_f64 v[112:113], v[135:136], v[112:113]
	v_add_f64 v[114:115], v[122:123], v[114:115]
	;; [unrolled: 1-line block ×3, first 2 shown]
	v_add_f64 v[122:123], v[104:105], -v[108:109]
	v_mul_f64 v[145:146], v[116:117], s[30:31]
	v_mul_f64 v[149:150], v[118:119], s[26:27]
	v_mul_f64 v[151:152], v[120:121], s[30:31]
	v_mul_f64 v[177:178], v[118:119], s[40:41]
	v_mul_f64 v[173:174], v[116:117], s[36:37]
	v_mul_f64 v[179:180], v[120:121], s[36:37]
	v_add_f64 v[104:105], v[112:113], v[108:109]
	v_add_f64 v[106:107], v[114:115], v[110:111]
	v_mul_f64 v[161:162], v[122:123], s[26:27]
	v_mul_f64 v[185:186], v[122:123], s[40:41]
	s_delay_alu instid0(VALU_DEP_4) | instskip(NEXT) | instid1(VALU_DEP_4)
	v_add_f64 v[84:85], v[104:105], v[84:85]
	v_add_f64 v[86:87], v[106:107], v[86:87]
	v_fma_f64 v[104:105], v[210:211], s[46:47], v[102:103]
	s_delay_alu instid0(VALU_DEP_3) | instskip(NEXT) | instid1(VALU_DEP_3)
	v_add_f64 v[80:81], v[84:85], v[80:81]
	v_add_f64 v[82:83], v[86:87], v[82:83]
	v_fma_f64 v[84:85], v[157:158], s[20:21], -v[169:170]
	v_fma_f64 v[86:87], v[155:156], s[18:19], v[187:188]
	s_delay_alu instid0(VALU_DEP_4) | instskip(SKIP_3) | instid1(VALU_DEP_3)
	v_add_f64 v[76:77], v[80:81], v[76:77]
	v_fma_f64 v[80:81], v[191:192], s[2:3], v[167:168]
	v_add_f64 v[78:79], v[82:83], v[78:79]
	v_fma_f64 v[82:83], v[155:156], s[20:21], v[163:164]
	v_add_f64 v[80:81], v[88:89], v[80:81]
	s_delay_alu instid0(VALU_DEP_1) | instskip(SKIP_1) | instid1(VALU_DEP_1)
	v_add_f64 v[80:81], v[82:83], v[80:81]
	v_fma_f64 v[82:83], v[193:194], s[2:3], -v[171:172]
	v_add_f64 v[82:83], v[90:91], v[82:83]
	s_delay_alu instid0(VALU_DEP_1) | instskip(SKIP_1) | instid1(VALU_DEP_1)
	v_add_f64 v[82:83], v[84:85], v[82:83]
	v_fma_f64 v[84:85], v[141:142], s[8:9], v[159:160]
	v_add_f64 v[80:81], v[84:85], v[80:81]
	v_fma_f64 v[84:85], v[143:144], s[8:9], -v[165:166]
	s_delay_alu instid0(VALU_DEP_1) | instskip(SKIP_1) | instid1(VALU_DEP_1)
	v_add_f64 v[82:83], v[84:85], v[82:83]
	v_fma_f64 v[84:85], v[135:136], s[18:19], v[149:150]
	v_add_f64 v[80:81], v[84:85], v[80:81]
	v_fma_f64 v[84:85], v[137:138], s[18:19], -v[161:162]
	;; [unrolled: 5-line block ×4, first 2 shown]
	s_delay_alu instid0(VALU_DEP_1) | instskip(SKIP_1) | instid1(VALU_DEP_1)
	v_add_f64 v[82:83], v[84:85], v[82:83]
	v_fma_f64 v[84:85], v[191:192], s[20:21], v[197:198]
	v_add_f64 v[84:85], v[88:89], v[84:85]
	s_delay_alu instid0(VALU_DEP_1) | instskip(SKIP_1) | instid1(VALU_DEP_1)
	v_add_f64 v[84:85], v[86:87], v[84:85]
	v_fma_f64 v[86:87], v[193:194], s[20:21], -v[199:200]
	v_add_f64 v[86:87], v[90:91], v[86:87]
	s_delay_alu instid0(VALU_DEP_1) | instskip(SKIP_1) | instid1(VALU_DEP_1)
	v_add_f64 v[86:87], v[92:93], v[86:87]
	v_fma_f64 v[92:93], v[141:142], s[10:11], v[183:184]
	v_add_f64 v[84:85], v[92:93], v[84:85]
	v_fma_f64 v[92:93], v[143:144], s[10:11], -v[189:190]
	s_delay_alu instid0(VALU_DEP_1) | instskip(SKIP_1) | instid1(VALU_DEP_1)
	v_add_f64 v[86:87], v[92:93], v[86:87]
	v_fma_f64 v[92:93], v[135:136], s[16:17], v[177:178]
	v_add_f64 v[84:85], v[92:93], v[84:85]
	v_fma_f64 v[92:93], v[137:138], s[16:17], -v[185:186]
	s_delay_alu instid0(VALU_DEP_1) | instskip(SKIP_1) | instid1(VALU_DEP_1)
	v_add_f64 v[86:87], v[92:93], v[86:87]
	v_fma_f64 v[92:93], v[124:125], s[8:9], v[173:174]
	v_add_f64 v[84:85], v[92:93], v[84:85]
	v_fma_f64 v[92:93], v[126:127], s[8:9], -v[179:180]
	s_delay_alu instid0(VALU_DEP_1) | instskip(SKIP_1) | instid1(VALU_DEP_1)
	v_add_f64 v[86:87], v[92:93], v[86:87]
	v_fma_f64 v[92:93], v[129:130], s[2:3], v[175:176]
	v_add_f64 v[84:85], v[92:93], v[84:85]
	v_fma_f64 v[92:93], v[131:132], s[2:3], -v[181:182]
	s_delay_alu instid0(VALU_DEP_1) | instskip(SKIP_2) | instid1(VALU_DEP_2)
	v_add_f64 v[86:87], v[92:93], v[86:87]
	v_fma_f64 v[92:93], v[191:192], s[8:9], v[96:97]
	v_fma_f64 v[96:97], v[191:192], s[8:9], -v[96:97]
	v_add_f64 v[92:93], v[88:89], v[92:93]
	s_delay_alu instid0(VALU_DEP_2) | instskip(NEXT) | instid1(VALU_DEP_2)
	v_add_f64 v[96:97], v[88:89], v[96:97]
	v_add_f64 v[92:93], v[94:95], v[92:93]
	v_fma_f64 v[94:95], v[216:217], s[36:37], v[100:101]
	s_delay_alu instid0(VALU_DEP_3) | instskip(SKIP_2) | instid1(VALU_DEP_4)
	v_add_f64 v[96:97], v[98:99], v[96:97]
	v_fma_f64 v[98:99], v[216:217], s[24:25], v[100:101]
	v_fma_f64 v[100:101], v[210:211], s[34:35], v[102:103]
	v_add_f64 v[94:95], v[90:91], v[94:95]
	s_delay_alu instid0(VALU_DEP_3) | instskip(NEXT) | instid1(VALU_DEP_2)
	v_add_f64 v[98:99], v[90:91], v[98:99]
	v_add_f64 v[94:95], v[104:105], v[94:95]
	v_mul_f64 v[104:105], v[208:209], s[42:43]
	s_delay_alu instid0(VALU_DEP_3) | instskip(NEXT) | instid1(VALU_DEP_2)
	v_add_f64 v[98:99], v[100:101], v[98:99]
	v_fma_f64 v[106:107], v[141:142], s[18:19], v[104:105]
	v_fma_f64 v[100:101], v[141:142], s[18:19], -v[104:105]
	v_mul_f64 v[104:105], v[214:215], s[26:27]
	s_delay_alu instid0(VALU_DEP_3) | instskip(SKIP_1) | instid1(VALU_DEP_4)
	v_add_f64 v[92:93], v[106:107], v[92:93]
	v_mul_f64 v[106:107], v[143:144], s[18:19]
	v_add_f64 v[96:97], v[100:101], v[96:97]
	s_delay_alu instid0(VALU_DEP_2) | instskip(SKIP_2) | instid1(VALU_DEP_3)
	v_fma_f64 v[108:109], v[206:207], s[26:27], v[106:107]
	v_fma_f64 v[100:101], v[206:207], s[42:43], v[106:107]
	v_mul_f64 v[106:107], v[212:213], s[40:41]
	v_add_f64 v[94:95], v[108:109], v[94:95]
	v_mul_f64 v[108:109], v[118:119], s[38:39]
	s_delay_alu instid0(VALU_DEP_4) | instskip(NEXT) | instid1(VALU_DEP_2)
	v_add_f64 v[98:99], v[100:101], v[98:99]
	v_fma_f64 v[110:111], v[135:136], s[2:3], v[108:109]
	v_fma_f64 v[100:101], v[135:136], s[2:3], -v[108:109]
	v_mul_f64 v[108:109], v[193:194], s[18:19]
	s_delay_alu instid0(VALU_DEP_3) | instskip(SKIP_1) | instid1(VALU_DEP_4)
	v_add_f64 v[92:93], v[110:111], v[92:93]
	v_mul_f64 v[110:111], v[137:138], s[2:3]
	v_add_f64 v[96:97], v[100:101], v[96:97]
	s_delay_alu instid0(VALU_DEP_2) | instskip(SKIP_2) | instid1(VALU_DEP_3)
	v_fma_f64 v[112:113], v[122:123], s[28:29], v[110:111]
	v_fma_f64 v[100:101], v[122:123], s[38:39], v[110:111]
	v_mul_f64 v[110:111], v[157:158], s[16:17]
	v_add_f64 v[94:95], v[112:113], v[94:95]
	v_mul_f64 v[112:113], v[116:117], s[22:23]
	s_delay_alu instid0(VALU_DEP_4) | instskip(NEXT) | instid1(VALU_DEP_2)
	v_add_f64 v[98:99], v[100:101], v[98:99]
	v_fma_f64 v[114:115], v[124:125], s[20:21], v[112:113]
	v_fma_f64 v[100:101], v[124:125], s[20:21], -v[112:113]
	v_fma_f64 v[112:113], v[210:211], s[30:31], v[110:111]
	s_delay_alu instid0(VALU_DEP_3) | instskip(SKIP_1) | instid1(VALU_DEP_4)
	v_add_f64 v[92:93], v[114:115], v[92:93]
	v_mul_f64 v[114:115], v[126:127], s[20:21]
	v_add_f64 v[96:97], v[100:101], v[96:97]
	s_delay_alu instid0(VALU_DEP_2) | instskip(SKIP_1) | instid1(VALU_DEP_2)
	v_fma_f64 v[218:219], v[120:121], s[44:45], v[114:115]
	v_fma_f64 v[100:101], v[120:121], s[22:23], v[114:115]
	v_add_f64 v[94:95], v[218:219], v[94:95]
	v_mul_f64 v[218:219], v[139:140], s[30:31]
	s_delay_alu instid0(VALU_DEP_3) | instskip(NEXT) | instid1(VALU_DEP_2)
	v_add_f64 v[98:99], v[100:101], v[98:99]
	v_fma_f64 v[220:221], v[129:130], s[16:17], v[218:219]
	v_fma_f64 v[100:101], v[129:130], s[16:17], -v[218:219]
	s_delay_alu instid0(VALU_DEP_2) | instskip(SKIP_1) | instid1(VALU_DEP_3)
	v_add_f64 v[92:93], v[220:221], v[92:93]
	v_mul_f64 v[220:221], v[131:132], s[16:17]
	v_add_f64 v[100:101], v[100:101], v[96:97]
	v_fma_f64 v[96:97], v[191:192], s[18:19], v[104:105]
	v_fma_f64 v[104:105], v[191:192], s[18:19], -v[104:105]
	s_delay_alu instid0(VALU_DEP_4) | instskip(SKIP_1) | instid1(VALU_DEP_4)
	v_fma_f64 v[102:103], v[133:134], s[30:31], v[220:221]
	v_fma_f64 v[222:223], v[133:134], s[40:41], v[220:221]
	v_add_f64 v[96:97], v[88:89], v[96:97]
	s_delay_alu instid0(VALU_DEP_4) | instskip(NEXT) | instid1(VALU_DEP_4)
	v_add_f64 v[104:105], v[88:89], v[104:105]
	v_add_f64 v[102:103], v[102:103], v[98:99]
	v_fma_f64 v[98:99], v[155:156], s[16:17], v[106:107]
	v_fma_f64 v[106:107], v[155:156], s[16:17], -v[106:107]
	v_add_f64 v[94:95], v[222:223], v[94:95]
	s_delay_alu instid0(VALU_DEP_3) | instskip(SKIP_1) | instid1(VALU_DEP_4)
	v_add_f64 v[96:97], v[98:99], v[96:97]
	v_fma_f64 v[98:99], v[216:217], s[42:43], v[108:109]
	v_add_f64 v[104:105], v[106:107], v[104:105]
	v_fma_f64 v[106:107], v[216:217], s[26:27], v[108:109]
	v_fma_f64 v[108:109], v[210:211], s[40:41], v[110:111]
	s_delay_alu instid0(VALU_DEP_4) | instskip(NEXT) | instid1(VALU_DEP_3)
	v_add_f64 v[98:99], v[90:91], v[98:99]
	v_add_f64 v[106:107], v[90:91], v[106:107]
	s_delay_alu instid0(VALU_DEP_2) | instskip(SKIP_1) | instid1(VALU_DEP_3)
	v_add_f64 v[98:99], v[112:113], v[98:99]
	v_mul_f64 v[112:113], v[208:209], s[38:39]
	v_add_f64 v[106:107], v[108:109], v[106:107]
	s_delay_alu instid0(VALU_DEP_2) | instskip(SKIP_3) | instid1(VALU_DEP_4)
	v_fma_f64 v[114:115], v[141:142], s[2:3], v[112:113]
	v_fma_f64 v[108:109], v[141:142], s[2:3], -v[112:113]
	v_mul_f64 v[112:113], v[214:215], s[30:31]
	v_mul_f64 v[214:215], v[214:215], s[34:35]
	v_add_f64 v[96:97], v[114:115], v[96:97]
	v_mul_f64 v[114:115], v[143:144], s[2:3]
	v_add_f64 v[104:105], v[108:109], v[104:105]
	s_delay_alu instid0(VALU_DEP_2) | instskip(SKIP_3) | instid1(VALU_DEP_4)
	v_fma_f64 v[218:219], v[206:207], s[28:29], v[114:115]
	v_fma_f64 v[108:109], v[206:207], s[38:39], v[114:115]
	v_mul_f64 v[114:115], v[212:213], s[36:37]
	v_mul_f64 v[212:213], v[212:213], s[38:39]
	v_add_f64 v[98:99], v[218:219], v[98:99]
	v_mul_f64 v[218:219], v[118:119], s[24:25]
	v_add_f64 v[106:107], v[108:109], v[106:107]
	s_delay_alu instid0(VALU_DEP_2) | instskip(SKIP_2) | instid1(VALU_DEP_3)
	v_fma_f64 v[220:221], v[135:136], s[8:9], v[218:219]
	v_fma_f64 v[108:109], v[135:136], s[8:9], -v[218:219]
	v_mul_f64 v[218:219], v[193:194], s[16:17]
	v_add_f64 v[96:97], v[220:221], v[96:97]
	v_mul_f64 v[220:221], v[137:138], s[8:9]
	s_delay_alu instid0(VALU_DEP_4) | instskip(NEXT) | instid1(VALU_DEP_2)
	v_add_f64 v[104:105], v[108:109], v[104:105]
	v_fma_f64 v[222:223], v[122:123], s[36:37], v[220:221]
	v_fma_f64 v[108:109], v[122:123], s[24:25], v[220:221]
	v_mul_f64 v[220:221], v[157:158], s[8:9]
	s_delay_alu instid0(VALU_DEP_3) | instskip(SKIP_1) | instid1(VALU_DEP_4)
	v_add_f64 v[98:99], v[222:223], v[98:99]
	v_mul_f64 v[222:223], v[116:117], s[46:47]
	v_add_f64 v[106:107], v[108:109], v[106:107]
	s_delay_alu instid0(VALU_DEP_2) | instskip(SKIP_2) | instid1(VALU_DEP_3)
	v_fma_f64 v[224:225], v[124:125], s[10:11], v[222:223]
	v_fma_f64 v[108:109], v[124:125], s[10:11], -v[222:223]
	v_fma_f64 v[222:223], v[210:211], s[24:25], v[220:221]
	v_add_f64 v[96:97], v[224:225], v[96:97]
	v_mul_f64 v[224:225], v[126:127], s[10:11]
	s_delay_alu instid0(VALU_DEP_4) | instskip(NEXT) | instid1(VALU_DEP_2)
	v_add_f64 v[104:105], v[108:109], v[104:105]
	v_fma_f64 v[226:227], v[120:121], s[34:35], v[224:225]
	v_fma_f64 v[108:109], v[120:121], s[46:47], v[224:225]
	s_delay_alu instid0(VALU_DEP_2) | instskip(SKIP_1) | instid1(VALU_DEP_3)
	v_add_f64 v[98:99], v[226:227], v[98:99]
	v_mul_f64 v[226:227], v[139:140], s[44:45]
	v_add_f64 v[106:107], v[108:109], v[106:107]
	s_delay_alu instid0(VALU_DEP_2) | instskip(SKIP_1) | instid1(VALU_DEP_2)
	v_fma_f64 v[228:229], v[129:130], s[20:21], v[226:227]
	v_fma_f64 v[108:109], v[129:130], s[20:21], -v[226:227]
	v_add_f64 v[96:97], v[228:229], v[96:97]
	v_mul_f64 v[228:229], v[131:132], s[20:21]
	s_delay_alu instid0(VALU_DEP_3) | instskip(SKIP_2) | instid1(VALU_DEP_4)
	v_add_f64 v[104:105], v[108:109], v[104:105]
	v_fma_f64 v[108:109], v[191:192], s[16:17], v[112:113]
	v_fma_f64 v[112:113], v[191:192], s[16:17], -v[112:113]
	v_fma_f64 v[110:111], v[133:134], s[44:45], v[228:229]
	v_fma_f64 v[230:231], v[133:134], s[22:23], v[228:229]
	s_delay_alu instid0(VALU_DEP_4) | instskip(NEXT) | instid1(VALU_DEP_4)
	v_add_f64 v[108:109], v[88:89], v[108:109]
	v_add_f64 v[112:113], v[88:89], v[112:113]
	s_delay_alu instid0(VALU_DEP_4) | instskip(SKIP_3) | instid1(VALU_DEP_3)
	v_add_f64 v[106:107], v[110:111], v[106:107]
	v_fma_f64 v[110:111], v[155:156], s[8:9], v[114:115]
	v_fma_f64 v[114:115], v[155:156], s[8:9], -v[114:115]
	v_add_f64 v[98:99], v[230:231], v[98:99]
	v_add_f64 v[108:109], v[110:111], v[108:109]
	v_fma_f64 v[110:111], v[216:217], s[40:41], v[218:219]
	s_delay_alu instid0(VALU_DEP_4) | instskip(SKIP_2) | instid1(VALU_DEP_4)
	v_add_f64 v[112:113], v[114:115], v[112:113]
	v_fma_f64 v[114:115], v[216:217], s[30:31], v[218:219]
	v_fma_f64 v[218:219], v[210:211], s[36:37], v[220:221]
	v_add_f64 v[110:111], v[90:91], v[110:111]
	s_delay_alu instid0(VALU_DEP_3) | instskip(NEXT) | instid1(VALU_DEP_2)
	v_add_f64 v[114:115], v[90:91], v[114:115]
	v_add_f64 v[110:111], v[222:223], v[110:111]
	v_mul_f64 v[222:223], v[208:209], s[22:23]
	s_delay_alu instid0(VALU_DEP_3) | instskip(SKIP_1) | instid1(VALU_DEP_3)
	v_add_f64 v[114:115], v[218:219], v[114:115]
	v_mul_f64 v[208:209], v[208:209], s[30:31]
	v_fma_f64 v[224:225], v[141:142], s[20:21], v[222:223]
	v_fma_f64 v[218:219], v[141:142], s[20:21], -v[222:223]
	s_delay_alu instid0(VALU_DEP_2) | instskip(SKIP_1) | instid1(VALU_DEP_3)
	v_add_f64 v[108:109], v[224:225], v[108:109]
	v_mul_f64 v[224:225], v[143:144], s[20:21]
	v_add_f64 v[112:113], v[218:219], v[112:113]
	s_delay_alu instid0(VALU_DEP_2) | instskip(SKIP_2) | instid1(VALU_DEP_3)
	v_fma_f64 v[226:227], v[206:207], s[44:45], v[224:225]
	v_fma_f64 v[218:219], v[206:207], s[22:23], v[224:225]
	v_mul_f64 v[224:225], v[157:158], s[2:3]
	v_add_f64 v[110:111], v[226:227], v[110:111]
	v_mul_f64 v[226:227], v[118:119], s[46:47]
	s_delay_alu instid0(VALU_DEP_4) | instskip(NEXT) | instid1(VALU_DEP_2)
	v_add_f64 v[114:115], v[218:219], v[114:115]
	v_fma_f64 v[228:229], v[135:136], s[10:11], v[226:227]
	v_fma_f64 v[218:219], v[135:136], s[10:11], -v[226:227]
	v_fma_f64 v[226:227], v[210:211], s[28:29], v[224:225]
	v_fma_f64 v[210:211], v[210:211], s[38:39], v[224:225]
	s_delay_alu instid0(VALU_DEP_4) | instskip(SKIP_2) | instid1(VALU_DEP_2)
	v_add_f64 v[108:109], v[228:229], v[108:109]
	v_mul_f64 v[228:229], v[137:138], s[10:11]
	v_add_f64 v[112:113], v[218:219], v[112:113]
	v_fma_f64 v[230:231], v[122:123], s[34:35], v[228:229]
	v_fma_f64 v[218:219], v[122:123], s[46:47], v[228:229]
	s_delay_alu instid0(VALU_DEP_2) | instskip(SKIP_1) | instid1(VALU_DEP_3)
	v_add_f64 v[110:111], v[230:231], v[110:111]
	v_mul_f64 v[230:231], v[116:117], s[38:39]
	v_add_f64 v[114:115], v[218:219], v[114:115]
	s_delay_alu instid0(VALU_DEP_2) | instskip(SKIP_1) | instid1(VALU_DEP_2)
	v_fma_f64 v[232:233], v[124:125], s[2:3], v[230:231]
	v_fma_f64 v[218:219], v[124:125], s[2:3], -v[230:231]
	v_add_f64 v[108:109], v[232:233], v[108:109]
	v_mul_f64 v[232:233], v[126:127], s[2:3]
	s_delay_alu instid0(VALU_DEP_3) | instskip(NEXT) | instid1(VALU_DEP_2)
	v_add_f64 v[112:113], v[218:219], v[112:113]
	v_fma_f64 v[234:235], v[120:121], s[28:29], v[232:233]
	v_fma_f64 v[218:219], v[120:121], s[38:39], v[232:233]
	v_mul_f64 v[232:233], v[126:127], s[18:19]
	s_delay_alu instid0(VALU_DEP_3) | instskip(SKIP_1) | instid1(VALU_DEP_4)
	v_add_f64 v[110:111], v[234:235], v[110:111]
	v_mul_f64 v[234:235], v[139:140], s[26:27]
	v_add_f64 v[114:115], v[218:219], v[114:115]
	v_mul_f64 v[139:140], v[139:140], s[36:37]
	s_delay_alu instid0(VALU_DEP_3) | instskip(SKIP_1) | instid1(VALU_DEP_2)
	v_fma_f64 v[236:237], v[129:130], s[18:19], v[234:235]
	v_fma_f64 v[218:219], v[129:130], s[18:19], -v[234:235]
	v_add_f64 v[108:109], v[236:237], v[108:109]
	v_mul_f64 v[236:237], v[131:132], s[18:19]
	s_delay_alu instid0(VALU_DEP_3) | instskip(SKIP_2) | instid1(VALU_DEP_4)
	v_add_f64 v[112:113], v[218:219], v[112:113]
	v_fma_f64 v[218:219], v[191:192], s[10:11], v[214:215]
	v_fma_f64 v[214:215], v[191:192], s[10:11], -v[214:215]
	v_fma_f64 v[220:221], v[133:134], s[26:27], v[236:237]
	v_fma_f64 v[238:239], v[133:134], s[42:43], v[236:237]
	s_delay_alu instid0(VALU_DEP_4) | instskip(NEXT) | instid1(VALU_DEP_4)
	v_add_f64 v[218:219], v[88:89], v[218:219]
	v_add_f64 v[214:215], v[88:89], v[214:215]
	s_delay_alu instid0(VALU_DEP_4) | instskip(SKIP_3) | instid1(VALU_DEP_3)
	v_add_f64 v[114:115], v[220:221], v[114:115]
	v_fma_f64 v[220:221], v[155:156], s[2:3], v[212:213]
	v_fma_f64 v[212:213], v[155:156], s[2:3], -v[212:213]
	v_add_f64 v[110:111], v[238:239], v[110:111]
	v_add_f64 v[218:219], v[220:221], v[218:219]
	v_mul_f64 v[220:221], v[193:194], s[10:11]
	s_delay_alu instid0(VALU_DEP_4) | instskip(NEXT) | instid1(VALU_DEP_2)
	v_add_f64 v[212:213], v[212:213], v[214:215]
	v_fma_f64 v[222:223], v[216:217], s[46:47], v[220:221]
	v_fma_f64 v[216:217], v[216:217], s[34:35], v[220:221]
	s_delay_alu instid0(VALU_DEP_2) | instskip(NEXT) | instid1(VALU_DEP_2)
	v_add_f64 v[222:223], v[90:91], v[222:223]
	v_add_f64 v[214:215], v[90:91], v[216:217]
	s_delay_alu instid0(VALU_DEP_2) | instskip(SKIP_1) | instid1(VALU_DEP_3)
	v_add_f64 v[222:223], v[226:227], v[222:223]
	v_fma_f64 v[226:227], v[141:142], s[16:17], v[208:209]
	v_add_f64 v[210:211], v[210:211], v[214:215]
	v_fma_f64 v[208:209], v[141:142], s[16:17], -v[208:209]
	s_delay_alu instid0(VALU_DEP_3) | instskip(SKIP_1) | instid1(VALU_DEP_3)
	v_add_f64 v[218:219], v[226:227], v[218:219]
	v_mul_f64 v[226:227], v[143:144], s[16:17]
	v_add_f64 v[208:209], v[208:209], v[212:213]
	s_delay_alu instid0(VALU_DEP_2) | instskip(SKIP_1) | instid1(VALU_DEP_2)
	v_fma_f64 v[228:229], v[206:207], s[40:41], v[226:227]
	v_fma_f64 v[206:207], v[206:207], s[30:31], v[226:227]
	v_add_f64 v[222:223], v[228:229], v[222:223]
	v_mul_f64 v[228:229], v[118:119], s[44:45]
	s_delay_alu instid0(VALU_DEP_3) | instskip(NEXT) | instid1(VALU_DEP_2)
	v_add_f64 v[206:207], v[206:207], v[210:211]
	v_fma_f64 v[118:119], v[135:136], s[20:21], v[228:229]
	v_fma_f64 v[210:211], v[135:136], s[20:21], -v[228:229]
	s_delay_alu instid0(VALU_DEP_2) | instskip(SKIP_1) | instid1(VALU_DEP_3)
	v_add_f64 v[118:119], v[118:119], v[218:219]
	v_mul_f64 v[218:219], v[137:138], s[20:21]
	v_add_f64 v[208:209], v[210:211], v[208:209]
	s_delay_alu instid0(VALU_DEP_2) | instskip(SKIP_1) | instid1(VALU_DEP_2)
	v_fma_f64 v[230:231], v[122:123], s[22:23], v[218:219]
	v_fma_f64 v[122:123], v[122:123], s[44:45], v[218:219]
	v_add_f64 v[222:223], v[230:231], v[222:223]
	v_mul_f64 v[230:231], v[116:117], s[26:27]
	s_delay_alu instid0(VALU_DEP_3) | instskip(NEXT) | instid1(VALU_DEP_2)
	v_add_f64 v[122:123], v[122:123], v[206:207]
	v_fma_f64 v[116:117], v[124:125], s[18:19], v[230:231]
	v_fma_f64 v[206:207], v[124:125], s[18:19], -v[230:231]
	s_delay_alu instid0(VALU_DEP_2) | instskip(SKIP_2) | instid1(VALU_DEP_4)
	v_add_f64 v[116:117], v[116:117], v[118:119]
	v_fma_f64 v[118:119], v[120:121], s[42:43], v[232:233]
	v_fma_f64 v[120:121], v[120:121], s[26:27], v[232:233]
	v_add_f64 v[206:207], v[206:207], v[208:209]
	s_delay_alu instid0(VALU_DEP_3) | instskip(SKIP_1) | instid1(VALU_DEP_4)
	v_add_f64 v[118:119], v[118:119], v[222:223]
	v_fma_f64 v[222:223], v[129:130], s[8:9], v[139:140]
	v_add_f64 v[122:123], v[120:121], v[122:123]
	v_fma_f64 v[120:121], v[129:130], s[8:9], -v[139:140]
	s_delay_alu instid0(VALU_DEP_3) | instskip(SKIP_1) | instid1(VALU_DEP_3)
	v_add_f64 v[116:117], v[222:223], v[116:117]
	v_mul_f64 v[222:223], v[131:132], s[8:9]
	v_add_f64 v[120:121], v[120:121], v[206:207]
	s_delay_alu instid0(VALU_DEP_2) | instskip(SKIP_1) | instid1(VALU_DEP_2)
	v_fma_f64 v[234:235], v[133:134], s[24:25], v[222:223]
	v_fma_f64 v[133:134], v[133:134], s[36:37], v[222:223]
	v_add_f64 v[118:119], v[234:235], v[118:119]
	s_delay_alu instid0(VALU_DEP_2)
	v_add_f64 v[122:123], v[133:134], v[122:123]
	s_and_saveexec_b32 s1, vcc_lo
	s_cbranch_execz .LBB0_17
; %bb.16:
	v_mul_f64 v[133:134], v[193:194], s[20:21]
	v_mul_f64 v[139:140], v[191:192], s[20:21]
	;; [unrolled: 1-line block ×8, first 2 shown]
	v_add_f64 v[133:134], v[199:200], v[133:134]
	v_add_f64 v[139:140], v[139:140], -v[197:198]
	v_add_f64 v[171:172], v[171:172], v[193:194]
	v_add_f64 v[167:168], v[191:192], -v[167:168]
	v_mul_f64 v[191:192], v[141:142], s[8:9]
	v_mul_f64 v[193:194], v[143:144], s[8:9]
	;; [unrolled: 1-line block ×4, first 2 shown]
	v_add_f64 v[195:196], v[195:196], v[206:207]
	v_add_f64 v[187:188], v[208:209], -v[187:188]
	v_add_f64 v[157:158], v[169:170], v[157:158]
	v_add_f64 v[155:156], v[155:156], -v[163:164]
	v_mul_f64 v[163:164], v[135:136], s[18:19]
	v_mul_f64 v[135:136], v[135:136], s[16:17]
	v_add_f64 v[133:134], v[90:91], v[133:134]
	v_add_f64 v[139:140], v[88:89], v[139:140]
	;; [unrolled: 1-line block ×4, first 2 shown]
	v_mul_f64 v[167:168], v[137:138], s[18:19]
	v_mul_f64 v[137:138], v[137:138], s[16:17]
	v_add_f64 v[141:142], v[141:142], -v[183:184]
	v_add_f64 v[143:144], v[189:190], v[143:144]
	v_add_f64 v[165:166], v[165:166], v[193:194]
	v_add_f64 v[159:160], v[191:192], -v[159:160]
	v_add_f64 v[149:150], v[163:164], -v[149:150]
	v_add_f64 v[135:136], v[135:136], -v[177:178]
	v_add_f64 v[133:134], v[195:196], v[133:134]
	v_add_f64 v[139:140], v[187:188], v[139:140]
	;; [unrolled: 1-line block ×4, first 2 shown]
	v_mul_f64 v[155:156], v[124:125], s[16:17]
	v_mul_f64 v[157:158], v[126:127], s[16:17]
	;; [unrolled: 1-line block ×4, first 2 shown]
	v_add_f64 v[137:138], v[185:186], v[137:138]
	v_add_f64 v[161:162], v[161:162], v[167:168]
	;; [unrolled: 1-line block ×6, first 2 shown]
	v_mul_f64 v[141:142], v[129:130], s[10:11]
	v_mul_f64 v[143:144], v[131:132], s[10:11]
	;; [unrolled: 1-line block ×4, first 2 shown]
	v_add_f64 v[126:127], v[179:180], v[126:127]
	v_add_f64 v[124:125], v[124:125], -v[173:174]
	v_add_f64 v[151:152], v[151:152], v[157:158]
	v_add_f64 v[145:146], v[155:156], -v[145:146]
	v_add_f64 v[133:134], v[137:138], v[133:134]
	v_add_f64 v[135:136], v[135:136], v[139:140]
	;; [unrolled: 1-line block ×4, first 2 shown]
	v_add_f64 v[139:140], v[141:142], -v[147:148]
	v_add_f64 v[137:138], v[153:154], v[143:144]
	v_add_f64 v[129:130], v[129:130], -v[175:176]
	v_add_f64 v[131:132], v[181:182], v[131:132]
	v_add_f64 v[126:127], v[126:127], v[133:134]
	;; [unrolled: 1-line block ×5, first 2 shown]
	s_delay_alu instid0(VALU_DEP_4) | instskip(NEXT) | instid1(VALU_DEP_4)
	v_add_f64 v[90:91], v[131:132], v[126:127]
	v_add_f64 v[88:89], v[129:130], v[124:125]
	s_delay_alu instid0(VALU_DEP_4) | instskip(NEXT) | instid1(VALU_DEP_4)
	v_add_f64 v[126:127], v[137:138], v[133:134]
	v_add_f64 v[124:125], v[139:140], v[135:136]
	v_and_b32_e32 v129, 0xffff, v205
	s_delay_alu instid0(VALU_DEP_1)
	v_lshlrev_b32_e32 v129, 4, v129
	ds_store_b128 v129, v[76:79]
	ds_store_b128 v129, v[80:83] offset:16
	ds_store_b128 v129, v[84:87] offset:32
	;; [unrolled: 1-line block ×12, first 2 shown]
.LBB0_17:
	s_or_b32 exec_lo, exec_lo, s1
	s_waitcnt lgkmcnt(0)
	s_barrier
	buffer_gl0_inv
	s_and_saveexec_b32 s1, s0
	s_cbranch_execz .LBB0_19
; %bb.18:
	ds_load_b128 v[76:79], v201
	ds_load_b128 v[80:83], v201 offset:2080
	ds_load_b128 v[84:87], v201 offset:4160
	;; [unrolled: 1-line block ×10, first 2 shown]
.LBB0_19:
	s_or_b32 exec_lo, exec_lo, s1
	s_waitcnt lgkmcnt(0)
	s_barrier
	buffer_gl0_inv
	s_and_saveexec_b32 s18, s0
	s_cbranch_execz .LBB0_21
; %bb.20:
	v_mul_f64 v[88:89], v[2:3], v[80:81]
	v_mul_f64 v[2:3], v[2:3], v[82:83]
	;; [unrolled: 1-line block ×20, first 2 shown]
	s_mov_b32 s24, 0xbb3a28a1
	s_mov_b32 s28, 0xfd768dbf
	;; [unrolled: 1-line block ×18, first 2 shown]
	v_fma_f64 v[82:83], v[0:1], v[82:83], -v[88:89]
	v_fma_f64 v[80:81], v[0:1], v[80:81], v[2:3]
	v_fma_f64 v[18:19], v[28:29], v[120:121], v[129:130]
	v_fma_f64 v[22:23], v[28:29], v[122:123], -v[30:31]
	v_fma_f64 v[10:11], v[20:21], v[112:113], v[133:134]
	v_fma_f64 v[28:29], v[8:9], v[84:85], v[135:136]
	v_fma_f64 v[6:7], v[12:13], v[104:105], v[137:138]
	v_fma_f64 v[0:1], v[4:5], v[100:101], v[139:140]
	v_fma_f64 v[14:15], v[20:21], v[114:115], -v[143:144]
	v_fma_f64 v[20:21], v[8:9], v[86:87], -v[145:146]
	;; [unrolled: 1-line block ×4, first 2 shown]
	v_fma_f64 v[88:89], v[36:37], v[108:109], v[90:91]
	v_fma_f64 v[90:91], v[32:33], v[116:117], v[124:125]
	v_fma_f64 v[36:37], v[36:37], v[110:111], -v[38:39]
	v_fma_f64 v[32:33], v[32:33], v[118:119], -v[34:35]
	v_fma_f64 v[34:35], v[24:25], v[96:97], v[126:127]
	v_fma_f64 v[24:25], v[24:25], v[98:99], -v[26:27]
	v_fma_f64 v[26:27], v[16:17], v[92:93], v[131:132]
	v_fma_f64 v[16:17], v[16:17], v[94:95], -v[141:142]
	s_mov_b32 s34, s20
	s_mov_b32 s36, s28
	;; [unrolled: 1-line block ×8, first 2 shown]
	v_add_f64 v[4:5], v[78:79], v[82:83]
	v_add_f64 v[12:13], v[76:77], v[80:81]
	v_add_f64 v[86:87], v[28:29], -v[6:7]
	v_add_f64 v[92:93], v[80:81], -v[0:1]
	v_add_f64 v[80:81], v[80:81], v[0:1]
	v_add_f64 v[100:101], v[20:21], -v[8:9]
	v_add_f64 v[102:103], v[82:83], -v[2:3]
	v_add_f64 v[82:83], v[82:83], v[2:3]
	v_add_f64 v[30:31], v[88:89], -v[90:91]
	v_add_f64 v[110:111], v[88:89], v[90:91]
	v_add_f64 v[94:95], v[36:37], -v[32:33]
	v_add_f64 v[38:39], v[34:35], -v[18:19]
	;; [unrolled: 1-line block ×5, first 2 shown]
	v_add_f64 v[114:115], v[26:27], v[10:11]
	v_add_f64 v[106:107], v[24:25], v[22:23]
	;; [unrolled: 1-line block ×9, first 2 shown]
	v_mul_f64 v[122:123], v[86:87], s[26:27]
	v_mul_f64 v[124:125], v[92:93], s[28:29]
	v_mul_f64 v[161:162], v[92:93], s[20:21]
	v_mul_f64 v[189:190], v[92:93], s[30:31]
	v_mul_f64 v[133:134], v[100:101], s[26:27]
	v_mul_f64 v[151:152], v[102:103], s[24:25]
	v_mul_f64 v[135:136], v[102:103], s[28:29]
	v_mul_f64 v[137:138], v[30:31], s[22:23]
	v_mul_f64 v[171:172], v[102:103], s[20:21]
	v_mul_f64 v[143:144], v[94:95], s[22:23]
	v_mul_f64 v[118:119], v[38:39], s[22:23]
	v_mul_f64 v[129:130], v[96:97], s[22:23]
	v_mul_f64 v[157:158], v[84:85], s[22:23]
	v_mul_f64 v[167:168], v[98:99], s[22:23]
	s_mov_b32 s23, 0xbfed1bb4
	v_mul_f64 v[149:150], v[100:101], s[34:35]
	v_mul_f64 v[191:192], v[102:103], s[22:23]
	;; [unrolled: 1-line block ×17, first 2 shown]
	v_add_f64 v[4:5], v[4:5], v[16:17]
	v_add_f64 v[12:13], v[12:13], v[26:27]
	v_mul_f64 v[26:27], v[92:93], s[24:25]
	v_mul_f64 v[92:93], v[92:93], s[22:23]
	;; [unrolled: 1-line block ×4, first 2 shown]
	v_fma_f64 v[195:196], v[20:21], s[10:11], v[122:123]
	v_fma_f64 v[197:198], v[82:83], s[2:3], v[124:125]
	v_fma_f64 v[124:125], v[82:83], s[2:3], -v[124:125]
	v_fma_f64 v[217:218], v[82:83], s[16:17], v[161:162]
	v_fma_f64 v[161:162], v[82:83], s[16:17], -v[161:162]
	v_fma_f64 v[215:216], v[80:81], s[8:9], -v[151:152]
	v_fma_f64 v[151:152], v[80:81], s[8:9], v[151:152]
	v_fma_f64 v[211:212], v[80:81], s[2:3], -v[135:136]
	v_fma_f64 v[135:136], v[80:81], s[2:3], v[135:136]
	;; [unrolled: 2-line block ×4, first 2 shown]
	v_fma_f64 v[209:210], v[28:29], s[10:11], -v[133:134]
	v_fma_f64 v[122:123], v[20:21], s[10:11], -v[122:123]
	v_fma_f64 v[133:134], v[28:29], s[10:11], v[133:134]
	v_fma_f64 v[225:226], v[80:81], s[0:1], v[191:192]
	v_mul_f64 v[175:176], v[38:39], s[34:35]
	v_mul_f64 v[183:184], v[96:97], s[34:35]
	v_fma_f64 v[227:228], v[28:29], s[2:3], -v[169:170]
	v_fma_f64 v[169:170], v[28:29], s[2:3], v[169:170]
	v_fma_f64 v[229:230], v[20:21], s[8:9], v[179:180]
	v_fma_f64 v[231:232], v[28:29], s[8:9], -v[187:188]
	v_fma_f64 v[179:180], v[20:21], s[8:9], -v[179:180]
	v_fma_f64 v[187:188], v[28:29], s[8:9], v[187:188]
	v_mul_f64 v[38:39], v[38:39], s[24:25]
	v_fma_f64 v[193:194], v[108:109], s[8:9], v[120:121]
	v_fma_f64 v[207:208], v[114:115], s[8:9], -v[131:132]
	v_fma_f64 v[120:121], v[108:109], s[8:9], -v[120:121]
	v_fma_f64 v[131:132], v[114:115], s[8:9], v[131:132]
	v_fma_f64 v[237:238], v[108:109], s[16:17], v[84:85]
	v_fma_f64 v[239:240], v[114:115], s[16:17], -v[98:99]
	v_add_f64 v[4:5], v[4:5], v[24:25]
	v_add_f64 v[12:13], v[12:13], v[34:35]
	v_mul_f64 v[24:25], v[86:87], s[22:23]
	v_mul_f64 v[34:35], v[100:101], s[22:23]
	v_fma_f64 v[213:214], v[82:83], s[8:9], v[26:27]
	v_fma_f64 v[26:27], v[82:83], s[8:9], -v[26:27]
	v_fma_f64 v[223:224], v[82:83], s[0:1], -v[92:93]
	v_fma_f64 v[82:83], v[82:83], s[0:1], v[92:93]
	v_fma_f64 v[92:93], v[80:81], s[0:1], -v[191:192]
	v_fma_f64 v[191:192], v[20:21], s[2:3], v[159:160]
	v_fma_f64 v[159:160], v[20:21], s[2:3], -v[159:160]
	v_add_f64 v[124:125], v[78:79], v[124:125]
	v_add_f64 v[151:152], v[76:77], v[151:152]
	;; [unrolled: 1-line block ×4, first 2 shown]
	v_fma_f64 v[84:85], v[108:109], s[16:17], -v[84:85]
	v_fma_f64 v[98:99], v[114:115], s[16:17], v[98:99]
	v_add_f64 v[189:190], v[78:79], v[189:190]
	v_add_f64 v[171:172], v[76:77], v[171:172]
	v_mul_f64 v[165:166], v[96:97], s[30:31]
	v_mul_f64 v[96:97], v[96:97], s[24:25]
	;; [unrolled: 1-line block ×7, first 2 shown]
	v_fma_f64 v[100:101], v[106:107], s[0:1], v[118:119]
	v_fma_f64 v[205:206], v[112:113], s[0:1], -v[129:130]
	v_fma_f64 v[118:119], v[106:107], s[0:1], -v[118:119]
	v_fma_f64 v[129:130], v[112:113], s[0:1], v[129:130]
	v_mul_f64 v[181:182], v[94:95], s[26:27]
	v_mul_f64 v[163:164], v[94:95], s[24:25]
	;; [unrolled: 1-line block ×3, first 2 shown]
	v_add_f64 v[4:5], v[4:5], v[36:37]
	v_add_f64 v[12:13], v[12:13], v[88:89]
	v_fma_f64 v[36:37], v[80:81], s[10:11], v[102:103]
	v_fma_f64 v[80:81], v[80:81], s[10:11], -v[102:103]
	v_fma_f64 v[88:89], v[20:21], s[16:17], v[16:17]
	v_fma_f64 v[102:103], v[28:29], s[16:17], -v[149:150]
	v_fma_f64 v[16:17], v[20:21], s[16:17], -v[16:17]
	v_fma_f64 v[149:150], v[28:29], s[16:17], v[149:150]
	v_fma_f64 v[233:234], v[20:21], s[0:1], v[24:25]
	v_fma_f64 v[235:236], v[28:29], s[0:1], -v[34:35]
	v_fma_f64 v[20:21], v[20:21], s[0:1], -v[24:25]
	v_fma_f64 v[24:25], v[28:29], s[0:1], v[34:35]
	v_add_f64 v[28:29], v[78:79], v[197:198]
	v_add_f64 v[197:198], v[78:79], v[213:214]
	v_add_f64 v[26:27], v[78:79], v[26:27]
	v_add_f64 v[34:35], v[76:77], v[211:212]
	v_add_f64 v[211:212], v[76:77], v[215:216]
	v_add_f64 v[213:214], v[78:79], v[217:218]
	v_add_f64 v[215:216], v[76:77], v[219:220]
	v_add_f64 v[217:218], v[78:79], v[221:222]
	v_add_f64 v[219:220], v[78:79], v[223:224]
	v_add_f64 v[221:222], v[76:77], v[225:226]
	v_add_f64 v[78:79], v[78:79], v[82:83]
	v_add_f64 v[82:83], v[76:77], v[92:93]
	v_fma_f64 v[92:93], v[114:115], s[10:11], v[147:148]
	v_fma_f64 v[223:224], v[108:109], s[2:3], v[177:178]
	v_fma_f64 v[225:226], v[114:115], s[2:3], -v[185:186]
	v_fma_f64 v[177:178], v[108:109], s[2:3], -v[177:178]
	v_fma_f64 v[185:186], v[114:115], s[2:3], v[185:186]
	v_fma_f64 v[86:87], v[104:105], s[16:17], v[116:117]
	v_fma_f64 v[199:200], v[110:111], s[16:17], -v[126:127]
	v_fma_f64 v[116:117], v[104:105], s[16:17], -v[116:117]
	v_fma_f64 v[126:127], v[110:111], s[16:17], v[126:127]
	v_add_f64 v[4:5], v[4:5], v[32:33]
	v_add_f64 v[12:13], v[12:13], v[90:91]
	;; [unrolled: 1-line block ×4, first 2 shown]
	v_fma_f64 v[76:77], v[108:109], s[10:11], v[141:142]
	v_fma_f64 v[90:91], v[108:109], s[10:11], -v[141:142]
	v_fma_f64 v[80:81], v[114:115], s[10:11], -v[147:148]
	v_fma_f64 v[141:142], v[108:109], s[0:1], v[157:158]
	v_fma_f64 v[147:148], v[114:115], s[0:1], -v[167:168]
	v_fma_f64 v[157:158], v[108:109], s[0:1], -v[157:158]
	v_fma_f64 v[167:168], v[114:115], s[0:1], v[167:168]
	v_add_f64 v[108:109], v[122:123], v[124:125]
	v_add_f64 v[28:29], v[195:196], v[28:29]
	;; [unrolled: 1-line block ×18, first 2 shown]
	v_fma_f64 v[169:170], v[106:107], s[16:17], v[175:176]
	v_fma_f64 v[171:172], v[112:113], s[16:17], -v[183:184]
	v_fma_f64 v[175:176], v[106:107], s[16:17], -v[175:176]
	v_fma_f64 v[179:180], v[112:113], s[16:17], v[183:184]
	v_fma_f64 v[183:184], v[106:107], s[8:9], v[38:39]
	v_fma_f64 v[38:39], v[106:107], s[8:9], -v[38:39]
	v_fma_f64 v[161:162], v[112:113], s[10:11], -v[165:166]
	v_fma_f64 v[165:166], v[112:113], s[10:11], v[165:166]
	v_fma_f64 v[187:188], v[112:113], s[8:9], -v[96:97]
	v_add_f64 v[4:5], v[4:5], v[22:23]
	v_add_f64 v[12:13], v[12:13], v[18:19]
	;; [unrolled: 1-line block ×4, first 2 shown]
	v_fma_f64 v[24:25], v[106:107], s[2:3], v[139:140]
	v_fma_f64 v[36:37], v[106:107], s[2:3], -v[139:140]
	v_fma_f64 v[139:140], v[112:113], s[2:3], v[145:146]
	v_fma_f64 v[32:33], v[112:113], s[2:3], -v[145:146]
	;; [unrolled: 2-line block ×3, first 2 shown]
	v_fma_f64 v[96:97], v[112:113], s[8:9], v[96:97]
	v_add_f64 v[106:107], v[120:121], v[108:109]
	v_add_f64 v[28:29], v[193:194], v[28:29]
	;; [unrolled: 1-line block ×18, first 2 shown]
	v_fma_f64 v[120:121], v[110:111], s[0:1], v[143:144]
	v_fma_f64 v[122:123], v[104:105], s[8:9], v[153:154]
	v_fma_f64 v[131:132], v[104:105], s[8:9], -v[153:154]
	v_fma_f64 v[135:136], v[104:105], s[10:11], v[173:174]
	v_fma_f64 v[141:142], v[104:105], s[10:11], -v[173:174]
	v_fma_f64 v[147:148], v[104:105], s[2:3], v[30:31]
	v_fma_f64 v[133:134], v[110:111], s[8:9], v[163:164]
	v_fma_f64 v[124:125], v[110:111], s[8:9], -v[163:164]
	v_fma_f64 v[149:150], v[110:111], s[2:3], -v[94:95]
	v_add_f64 v[4:5], v[4:5], v[14:15]
	v_add_f64 v[10:11], v[12:13], v[10:11]
	;; [unrolled: 1-line block ×4, first 2 shown]
	v_fma_f64 v[18:19], v[104:105], s[0:1], v[137:138]
	v_fma_f64 v[98:99], v[104:105], s[0:1], -v[137:138]
	v_fma_f64 v[104:105], v[104:105], s[2:3], -v[30:31]
	;; [unrolled: 1-line block ×3, first 2 shown]
	v_fma_f64 v[143:144], v[110:111], s[10:11], v[181:182]
	v_fma_f64 v[137:138], v[110:111], s[10:11], -v[181:182]
	v_fma_f64 v[94:95], v[110:111], s[2:3], v[94:95]
	v_add_f64 v[28:29], v[100:101], v[28:29]
	v_add_f64 v[24:25], v[24:25], v[76:77]
	;; [unrolled: 1-line block ×40, first 2 shown]
	v_mul_u32_u24_e32 v80, 0x8f, v204
	s_delay_alu instid0(VALU_DEP_1)
	v_add_lshl_u32 v80, v80, v203, 4
	v_add_f64 v[2:3], v[102:103], v[2:3]
	v_add_f64 v[0:1], v[106:107], v[0:1]
	;; [unrolled: 1-line block ×4, first 2 shown]
	ds_store_b128 v80, v[16:19] offset:832
	ds_store_b128 v80, v[8:11] offset:1040
	;; [unrolled: 1-line block ×8, first 2 shown]
	ds_store_b128 v80, v[0:3]
	ds_store_b128 v80, v[32:35] offset:208
	ds_store_b128 v80, v[28:31] offset:2080
.LBB0_21:
	s_or_b32 exec_lo, exec_lo, s18
	s_waitcnt lgkmcnt(0)
	s_barrier
	buffer_gl0_inv
	ds_load_b128 v[0:3], v201 offset:6864
	ds_load_b128 v[4:7], v201 offset:11440
	;; [unrolled: 1-line block ×6, first 2 shown]
	s_mov_b32 s8, 0x134454ff
	s_mov_b32 s9, 0xbfee6f0e
	;; [unrolled: 1-line block ×15, first 2 shown]
	s_waitcnt lgkmcnt(5)
	v_mul_f64 v[24:25], v[62:63], v[0:1]
	s_waitcnt lgkmcnt(4)
	v_mul_f64 v[26:27], v[70:71], v[4:5]
	;; [unrolled: 2-line block ×5, first 2 shown]
	v_mul_f64 v[38:39], v[62:63], v[2:3]
	v_mul_f64 v[62:63], v[70:71], v[6:7]
	;; [unrolled: 1-line block ×5, first 2 shown]
	s_mov_b32 s22, s18
	v_fma_f64 v[74:75], v[60:61], v[2:3], -v[24:25]
	v_fma_f64 v[6:7], v[68:69], v[6:7], -v[26:27]
	v_fma_f64 v[10:11], v[64:65], v[10:11], -v[28:29]
	v_fma_f64 v[14:15], v[72:73], v[14:15], -v[30:31]
	ds_load_b128 v[24:27], v201 offset:9152
	ds_load_b128 v[28:31], v201 offset:13728
	;; [unrolled: 1-line block ×3, first 2 shown]
	s_waitcnt lgkmcnt(3)
	v_mul_f64 v[2:3], v[58:59], v[22:23]
	v_mul_f64 v[58:59], v[58:59], v[20:21]
	v_fma_f64 v[38:39], v[60:61], v[0:1], v[38:39]
	v_fma_f64 v[4:5], v[68:69], v[4:5], v[62:63]
	;; [unrolled: 1-line block ×4, first 2 shown]
	v_fma_f64 v[18:19], v[40:41], v[18:19], -v[36:37]
	v_fma_f64 v[16:17], v[40:41], v[16:17], v[42:43]
	s_waitcnt lgkmcnt(2)
	v_mul_f64 v[76:77], v[54:55], v[26:27]
	v_mul_f64 v[54:55], v[54:55], v[24:25]
	s_waitcnt lgkmcnt(1)
	v_mul_f64 v[78:79], v[50:51], v[30:31]
	s_waitcnt lgkmcnt(0)
	v_mul_f64 v[80:81], v[46:47], v[34:35]
	v_mul_f64 v[50:51], v[50:51], v[28:29]
	;; [unrolled: 1-line block ×3, first 2 shown]
	v_add_f64 v[60:61], v[74:75], -v[6:7]
	v_add_f64 v[0:1], v[6:7], v[10:11]
	v_add_f64 v[36:37], v[74:75], v[14:15]
	v_add_f64 v[62:63], v[14:15], -v[10:11]
	v_fma_f64 v[20:21], v[56:57], v[20:21], v[2:3]
	v_fma_f64 v[22:23], v[56:57], v[22:23], -v[58:59]
	v_add_f64 v[58:59], v[74:75], -v[14:15]
	v_add_f64 v[64:65], v[6:7], -v[74:75]
	v_add_f64 v[40:41], v[4:5], v[8:9]
	v_add_f64 v[42:43], v[38:39], v[12:13]
	v_add_f64 v[66:67], v[10:11], -v[14:15]
	v_add_f64 v[68:69], v[6:7], -v[10:11]
	;; [unrolled: 1-line block ×5, first 2 shown]
	v_fma_f64 v[24:25], v[52:53], v[24:25], v[76:77]
	v_fma_f64 v[26:27], v[52:53], v[26:27], -v[54:55]
	v_fma_f64 v[28:29], v[48:49], v[28:29], v[78:79]
	v_fma_f64 v[32:33], v[44:45], v[32:33], v[80:81]
	v_fma_f64 v[30:31], v[48:49], v[30:31], -v[50:51]
	v_fma_f64 v[34:35], v[44:45], v[34:35], -v[46:47]
	v_add_f64 v[44:45], v[38:39], -v[12:13]
	v_add_f64 v[46:47], v[4:5], -v[8:9]
	v_fma_f64 v[48:49], v[0:1], -0.5, v[18:19]
	v_fma_f64 v[36:37], v[36:37], -0.5, v[18:19]
	ds_load_b128 v[0:3], v201
	v_add_f64 v[18:19], v[18:19], v[74:75]
	v_fma_f64 v[40:41], v[40:41], -0.5, v[16:17]
	v_fma_f64 v[42:43], v[42:43], -0.5, v[16:17]
	v_add_f64 v[16:17], v[16:17], v[38:39]
	v_add_f64 v[38:39], v[4:5], -v[38:39]
	v_add_f64 v[90:91], v[22:23], -v[26:27]
	v_add_f64 v[50:51], v[24:25], v[28:29]
	v_add_f64 v[52:53], v[20:21], v[32:33]
	;; [unrolled: 1-line block ×4, first 2 shown]
	s_waitcnt lgkmcnt(0)
	v_add_f64 v[76:77], v[0:1], v[20:21]
	v_add_f64 v[82:83], v[2:3], v[22:23]
	v_add_f64 v[78:79], v[22:23], -v[34:35]
	v_add_f64 v[74:75], v[20:21], -v[32:33]
	;; [unrolled: 1-line block ×6, first 2 shown]
	v_fma_f64 v[70:71], v[44:45], s[0:1], v[48:49]
	v_fma_f64 v[72:73], v[46:47], s[8:9], v[36:37]
	;; [unrolled: 1-line block ×4, first 2 shown]
	v_add_f64 v[6:7], v[18:19], v[6:7]
	v_add_f64 v[4:5], v[16:17], v[4:5]
	;; [unrolled: 1-line block ×4, first 2 shown]
	v_fma_f64 v[50:51], v[50:51], -0.5, v[0:1]
	v_fma_f64 v[0:1], v[52:53], -0.5, v[0:1]
	v_fma_f64 v[54:55], v[54:55], -0.5, v[2:3]
	v_fma_f64 v[2:3], v[56:57], -0.5, v[2:3]
	v_add_f64 v[56:57], v[60:61], v[62:63]
	v_add_f64 v[60:61], v[64:65], v[66:67]
	v_fma_f64 v[62:63], v[58:59], s[8:9], v[40:41]
	v_fma_f64 v[40:41], v[58:59], s[0:1], v[40:41]
	;; [unrolled: 1-line block ×4, first 2 shown]
	v_add_f64 v[52:53], v[24:25], -v[28:29]
	v_add_f64 v[26:27], v[82:83], v[26:27]
	v_add_f64 v[22:23], v[22:23], v[94:95]
	v_fma_f64 v[66:67], v[46:47], s[2:3], v[70:71]
	v_fma_f64 v[70:71], v[44:45], s[2:3], v[72:73]
	;; [unrolled: 1-line block ×4, first 2 shown]
	v_add_f64 v[46:47], v[20:21], -v[24:25]
	v_add_f64 v[20:21], v[24:25], -v[20:21]
	v_add_f64 v[24:25], v[76:77], v[24:25]
	v_add_f64 v[48:49], v[32:33], -v[28:29]
	v_add_f64 v[72:73], v[28:29], -v[32:33]
	v_add_f64 v[4:5], v[4:5], v[8:9]
	v_add_f64 v[6:7], v[6:7], v[10:11]
	v_fma_f64 v[18:19], v[78:79], s[8:9], v[50:51]
	v_fma_f64 v[50:51], v[78:79], s[0:1], v[50:51]
	;; [unrolled: 1-line block ×12, first 2 shown]
	v_add_f64 v[26:27], v[26:27], v[30:31]
	v_fma_f64 v[58:59], v[56:57], s[10:11], v[66:67]
	v_fma_f64 v[66:67], v[60:61], s[10:11], v[70:71]
	;; [unrolled: 1-line block ×4, first 2 shown]
	v_add_f64 v[24:25], v[24:25], v[28:29]
	v_add_f64 v[46:47], v[46:47], v[48:49]
	;; [unrolled: 1-line block ×6, first 2 shown]
	v_fma_f64 v[8:9], v[80:81], s[16:17], v[18:19]
	v_fma_f64 v[10:11], v[80:81], s[2:3], v[50:51]
	v_fma_f64 v[28:29], v[52:53], s[2:3], v[82:83]
	v_fma_f64 v[30:31], v[52:53], s[16:17], v[54:55]
	v_fma_f64 v[18:19], v[78:79], s[16:17], v[76:77]
	v_fma_f64 v[0:1], v[78:79], s[2:3], v[0:1]
	v_fma_f64 v[52:53], v[16:17], s[10:11], v[62:63]
	v_fma_f64 v[16:17], v[16:17], s[10:11], v[40:41]
	v_fma_f64 v[40:41], v[38:39], s[10:11], v[64:65]
	v_fma_f64 v[38:39], v[38:39], s[10:11], v[42:43]
	v_fma_f64 v[50:51], v[74:75], s[2:3], v[84:85]
	v_fma_f64 v[2:3], v[74:75], s[16:17], v[2:3]
	v_add_f64 v[26:27], v[26:27], v[34:35]
	v_mul_f64 v[42:43], v[58:59], s[16:17]
	v_mul_f64 v[58:59], v[58:59], s[18:19]
	v_mul_f64 v[54:55], v[66:67], s[8:9]
	v_mul_f64 v[62:63], v[66:67], s[10:11]
	v_mul_f64 v[56:57], v[36:37], s[8:9]
	v_mul_f64 v[36:37], v[36:37], s[20:21]
	v_mul_f64 v[60:61], v[44:45], s[16:17]
	v_mul_f64 v[44:45], v[44:45], s[22:23]
	v_add_f64 v[24:25], v[24:25], v[32:33]
	v_fma_f64 v[32:33], v[46:47], s[10:11], v[8:9]
	v_fma_f64 v[34:35], v[46:47], s[10:11], v[10:11]
	;; [unrolled: 1-line block ×8, first 2 shown]
	v_add_f64 v[2:3], v[26:27], v[6:7]
	v_add_f64 v[6:7], v[26:27], -v[6:7]
	v_fma_f64 v[28:29], v[52:53], s[18:19], v[42:43]
	v_fma_f64 v[52:53], v[52:53], s[2:3], v[58:59]
	;; [unrolled: 1-line block ×8, first 2 shown]
	v_add_f64 v[0:1], v[24:25], v[4:5]
	v_add_f64 v[4:5], v[24:25], -v[4:5]
	v_add_f64 v[8:9], v[32:33], v[28:29]
	v_add_f64 v[10:11], v[66:67], v[52:53]
	;; [unrolled: 1-line block ×8, first 2 shown]
	v_add_f64 v[24:25], v[32:33], -v[28:29]
	v_add_f64 v[26:27], v[66:67], -v[52:53]
	;; [unrolled: 1-line block ×8, first 2 shown]
	ds_store_b128 v201, v[0:3]
	ds_store_b128 v201, v[8:11] offset:2288
	ds_store_b128 v201, v[12:15] offset:4576
	;; [unrolled: 1-line block ×9, first 2 shown]
	s_waitcnt lgkmcnt(0)
	s_barrier
	buffer_gl0_inv
	s_and_b32 exec_lo, exec_lo, vcc_lo
	s_cbranch_execz .LBB0_23
; %bb.22:
	v_add_co_u32 v0, s0, s14, v201
	s_delay_alu instid0(VALU_DEP_1)
	v_add_co_ci_u32_e64 v1, null, s15, 0, s0
	s_clause 0x2
	global_load_b128 v[2:5], v201, s[14:15]
	global_load_b128 v[6:9], v201, s[14:15] offset:1760
	global_load_b128 v[10:13], v201, s[14:15] offset:3520
	v_add_co_u32 v18, vcc_lo, 0x1000, v0
	v_add_co_ci_u32_e32 v19, vcc_lo, 0, v1, vcc_lo
	v_add_co_u32 v26, vcc_lo, 0x2000, v0
	v_add_co_ci_u32_e32 v27, vcc_lo, 0, v1, vcc_lo
	;; [unrolled: 2-line block ×3, first 2 shown]
	v_add_co_u32 v46, vcc_lo, 0x4000, v0
	s_clause 0x4
	global_load_b128 v[14:17], v[18:19], off offset:1184
	global_load_b128 v[18:21], v[18:19], off offset:2944
	;; [unrolled: 1-line block ×5, first 2 shown]
	v_add_co_ci_u32_e32 v47, vcc_lo, 0, v1, vcc_lo
	s_clause 0x3
	global_load_b128 v[34:37], v[38:39], off offset:1792
	global_load_b128 v[38:41], v[38:39], off offset:3552
	;; [unrolled: 1-line block ×4, first 2 shown]
	v_mad_u64_u32 v[90:91], null, s6, v128, 0
	v_mad_u64_u32 v[102:103], null, s4, v202, 0
	ds_load_b128 v[50:53], v201
	ds_load_b128 v[54:57], v201 offset:1760
	s_mul_i32 s0, s5, 0x6e0
	s_mul_hi_u32 s1, s4, 0x6e0
	s_mul_i32 s2, s4, 0x6e0
	v_mov_b32_e32 v58, v91
	s_add_i32 s3, s1, s0
	v_mov_b32_e32 v66, v103
	s_mov_b32 s0, 0xd118b474
	s_mov_b32 s1, 0x3f46ea28
	v_mad_u64_u32 v[74:75], null, s7, v128, v[58:59]
	s_delay_alu instid0(VALU_DEP_2)
	v_mad_u64_u32 v[92:93], null, s5, v202, v[66:67]
	ds_load_b128 v[58:61], v201 offset:3520
	ds_load_b128 v[62:65], v201 offset:5280
	ds_load_b128 v[66:69], v201 offset:7040
	ds_load_b128 v[70:73], v201 offset:8800
	v_mov_b32_e32 v91, v74
	ds_load_b128 v[74:77], v201 offset:10560
	ds_load_b128 v[78:81], v201 offset:12320
	;; [unrolled: 1-line block ×4, first 2 shown]
	v_mov_b32_e32 v103, v92
	v_lshlrev_b64 v[104:105], 4, v[90:91]
	ds_load_b128 v[90:93], v201 offset:17600
	ds_load_b128 v[94:97], v201 offset:19360
	;; [unrolled: 1-line block ×3, first 2 shown]
	v_lshlrev_b64 v[102:103], 4, v[102:103]
	v_add_co_u32 v104, vcc_lo, s12, v104
	v_add_co_ci_u32_e32 v105, vcc_lo, s13, v105, vcc_lo
	s_delay_alu instid0(VALU_DEP_2) | instskip(NEXT) | instid1(VALU_DEP_2)
	v_add_co_u32 v102, vcc_lo, v104, v102
	v_add_co_ci_u32_e32 v103, vcc_lo, v105, v103, vcc_lo
	s_delay_alu instid0(VALU_DEP_2) | instskip(NEXT) | instid1(VALU_DEP_2)
	;; [unrolled: 3-line block ×4, first 2 shown]
	v_add_co_u32 v132, vcc_lo, v130, s2
	v_add_co_ci_u32_e32 v133, vcc_lo, s3, v131, vcc_lo
	s_waitcnt vmcnt(11) lgkmcnt(12)
	v_mul_f64 v[104:105], v[52:53], v[4:5]
	v_mul_f64 v[4:5], v[50:51], v[4:5]
	s_waitcnt vmcnt(10) lgkmcnt(11)
	v_mul_f64 v[106:107], v[56:57], v[8:9]
	v_mul_f64 v[8:9], v[54:55], v[8:9]
	;; [unrolled: 3-line block ×12, first 2 shown]
	v_fma_f64 v[50:51], v[50:51], v[2:3], v[104:105]
	v_fma_f64 v[4:5], v[2:3], v[52:53], -v[4:5]
	v_fma_f64 v[52:53], v[54:55], v[6:7], v[106:107]
	v_fma_f64 v[8:9], v[6:7], v[56:57], -v[8:9]
	;; [unrolled: 2-line block ×12, first 2 shown]
	v_add_co_u32 v74, vcc_lo, v132, s2
	v_add_co_ci_u32_e32 v75, vcc_lo, s3, v133, vcc_lo
	s_delay_alu instid0(VALU_DEP_2)
	v_add_co_u32 v76, vcc_lo, v74, s2
	v_mul_f64 v[2:3], v[50:51], s[0:1]
	v_mul_f64 v[4:5], v[4:5], s[0:1]
	;; [unrolled: 1-line block ×6, first 2 shown]
	v_add_co_ci_u32_e32 v77, vcc_lo, s3, v75, vcc_lo
	v_add_co_u32 v78, vcc_lo, v76, s2
	s_delay_alu instid0(VALU_DEP_2)
	v_add_co_ci_u32_e32 v79, vcc_lo, s3, v77, vcc_lo
	v_mul_f64 v[14:15], v[56:57], s[0:1]
	v_mul_f64 v[16:17], v[16:17], s[0:1]
	;; [unrolled: 1-line block ×18, first 2 shown]
	v_add_co_u32 v50, vcc_lo, v78, s2
	v_add_co_ci_u32_e32 v51, vcc_lo, s3, v79, vcc_lo
	s_delay_alu instid0(VALU_DEP_2) | instskip(NEXT) | instid1(VALU_DEP_2)
	v_add_co_u32 v52, vcc_lo, v50, s2
	v_add_co_ci_u32_e32 v53, vcc_lo, s3, v51, vcc_lo
	s_delay_alu instid0(VALU_DEP_2) | instskip(NEXT) | instid1(VALU_DEP_2)
	;; [unrolled: 3-line block ×3, first 2 shown]
	v_add_co_u32 v56, vcc_lo, v54, s2
	v_add_co_ci_u32_e32 v57, vcc_lo, s3, v55, vcc_lo
	v_add_co_u32 v0, vcc_lo, 0x5000, v0
	v_add_co_ci_u32_e32 v1, vcc_lo, 0, v1, vcc_lo
	s_delay_alu instid0(VALU_DEP_4) | instskip(NEXT) | instid1(VALU_DEP_4)
	v_add_co_u32 v58, vcc_lo, v56, s2
	v_add_co_ci_u32_e32 v59, vcc_lo, s3, v57, vcc_lo
	s_clause 0x4
	global_store_b128 v[102:103], v[2:5], off
	global_store_b128 v[128:129], v[6:9], off
	;; [unrolled: 1-line block ×12, first 2 shown]
	global_load_b128 v[0:3], v[0:1], off offset:640
	s_waitcnt vmcnt(0) lgkmcnt(0)
	v_mul_f64 v[4:5], v[100:101], v[2:3]
	v_mul_f64 v[2:3], v[98:99], v[2:3]
	s_delay_alu instid0(VALU_DEP_2) | instskip(NEXT) | instid1(VALU_DEP_2)
	v_fma_f64 v[4:5], v[98:99], v[0:1], v[4:5]
	v_fma_f64 v[2:3], v[0:1], v[100:101], -v[2:3]
	s_delay_alu instid0(VALU_DEP_2) | instskip(NEXT) | instid1(VALU_DEP_2)
	v_mul_f64 v[0:1], v[4:5], s[0:1]
	v_mul_f64 v[2:3], v[2:3], s[0:1]
	v_add_co_u32 v4, vcc_lo, v58, s2
	v_add_co_ci_u32_e32 v5, vcc_lo, s3, v59, vcc_lo
	global_store_b128 v[4:5], v[0:3], off
.LBB0_23:
	s_nop 0
	s_sendmsg sendmsg(MSG_DEALLOC_VGPRS)
	s_endpgm
	.section	.rodata,"a",@progbits
	.p2align	6, 0x0
	.amdhsa_kernel bluestein_single_back_len1430_dim1_dp_op_CI_CI
		.amdhsa_group_segment_fixed_size 22880
		.amdhsa_private_segment_fixed_size 0
		.amdhsa_kernarg_size 104
		.amdhsa_user_sgpr_count 15
		.amdhsa_user_sgpr_dispatch_ptr 0
		.amdhsa_user_sgpr_queue_ptr 0
		.amdhsa_user_sgpr_kernarg_segment_ptr 1
		.amdhsa_user_sgpr_dispatch_id 0
		.amdhsa_user_sgpr_private_segment_size 0
		.amdhsa_wavefront_size32 1
		.amdhsa_uses_dynamic_stack 0
		.amdhsa_enable_private_segment 0
		.amdhsa_system_sgpr_workgroup_id_x 1
		.amdhsa_system_sgpr_workgroup_id_y 0
		.amdhsa_system_sgpr_workgroup_id_z 0
		.amdhsa_system_sgpr_workgroup_info 0
		.amdhsa_system_vgpr_workitem_id 0
		.amdhsa_next_free_vgpr 253
		.amdhsa_next_free_sgpr 48
		.amdhsa_reserve_vcc 1
		.amdhsa_float_round_mode_32 0
		.amdhsa_float_round_mode_16_64 0
		.amdhsa_float_denorm_mode_32 3
		.amdhsa_float_denorm_mode_16_64 3
		.amdhsa_dx10_clamp 1
		.amdhsa_ieee_mode 1
		.amdhsa_fp16_overflow 0
		.amdhsa_workgroup_processor_mode 1
		.amdhsa_memory_ordered 1
		.amdhsa_forward_progress 0
		.amdhsa_shared_vgpr_count 0
		.amdhsa_exception_fp_ieee_invalid_op 0
		.amdhsa_exception_fp_denorm_src 0
		.amdhsa_exception_fp_ieee_div_zero 0
		.amdhsa_exception_fp_ieee_overflow 0
		.amdhsa_exception_fp_ieee_underflow 0
		.amdhsa_exception_fp_ieee_inexact 0
		.amdhsa_exception_int_div_zero 0
	.end_amdhsa_kernel
	.text
.Lfunc_end0:
	.size	bluestein_single_back_len1430_dim1_dp_op_CI_CI, .Lfunc_end0-bluestein_single_back_len1430_dim1_dp_op_CI_CI
                                        ; -- End function
	.section	.AMDGPU.csdata,"",@progbits
; Kernel info:
; codeLenInByte = 22272
; NumSgprs: 50
; NumVgprs: 253
; ScratchSize: 0
; MemoryBound: 0
; FloatMode: 240
; IeeeMode: 1
; LDSByteSize: 22880 bytes/workgroup (compile time only)
; SGPRBlocks: 6
; VGPRBlocks: 31
; NumSGPRsForWavesPerEU: 50
; NumVGPRsForWavesPerEU: 253
; Occupancy: 5
; WaveLimiterHint : 1
; COMPUTE_PGM_RSRC2:SCRATCH_EN: 0
; COMPUTE_PGM_RSRC2:USER_SGPR: 15
; COMPUTE_PGM_RSRC2:TRAP_HANDLER: 0
; COMPUTE_PGM_RSRC2:TGID_X_EN: 1
; COMPUTE_PGM_RSRC2:TGID_Y_EN: 0
; COMPUTE_PGM_RSRC2:TGID_Z_EN: 0
; COMPUTE_PGM_RSRC2:TIDIG_COMP_CNT: 0
	.text
	.p2alignl 7, 3214868480
	.fill 96, 4, 3214868480
	.type	__hip_cuid_4a9c29892608af31,@object ; @__hip_cuid_4a9c29892608af31
	.section	.bss,"aw",@nobits
	.globl	__hip_cuid_4a9c29892608af31
__hip_cuid_4a9c29892608af31:
	.byte	0                               ; 0x0
	.size	__hip_cuid_4a9c29892608af31, 1

	.ident	"AMD clang version 19.0.0git (https://github.com/RadeonOpenCompute/llvm-project roc-6.4.0 25133 c7fe45cf4b819c5991fe208aaa96edf142730f1d)"
	.section	".note.GNU-stack","",@progbits
	.addrsig
	.addrsig_sym __hip_cuid_4a9c29892608af31
	.amdgpu_metadata
---
amdhsa.kernels:
  - .args:
      - .actual_access:  read_only
        .address_space:  global
        .offset:         0
        .size:           8
        .value_kind:     global_buffer
      - .actual_access:  read_only
        .address_space:  global
        .offset:         8
        .size:           8
        .value_kind:     global_buffer
      - .actual_access:  read_only
        .address_space:  global
        .offset:         16
        .size:           8
        .value_kind:     global_buffer
      - .actual_access:  read_only
        .address_space:  global
        .offset:         24
        .size:           8
        .value_kind:     global_buffer
      - .actual_access:  read_only
        .address_space:  global
        .offset:         32
        .size:           8
        .value_kind:     global_buffer
      - .offset:         40
        .size:           8
        .value_kind:     by_value
      - .address_space:  global
        .offset:         48
        .size:           8
        .value_kind:     global_buffer
      - .address_space:  global
        .offset:         56
        .size:           8
        .value_kind:     global_buffer
      - .address_space:  global
        .offset:         64
        .size:           8
        .value_kind:     global_buffer
      - .address_space:  global
        .offset:         72
        .size:           8
        .value_kind:     global_buffer
      - .offset:         80
        .size:           4
        .value_kind:     by_value
      - .address_space:  global
        .offset:         88
        .size:           8
        .value_kind:     global_buffer
      - .address_space:  global
        .offset:         96
        .size:           8
        .value_kind:     global_buffer
    .group_segment_fixed_size: 22880
    .kernarg_segment_align: 8
    .kernarg_segment_size: 104
    .language:       OpenCL C
    .language_version:
      - 2
      - 0
    .max_flat_workgroup_size: 143
    .name:           bluestein_single_back_len1430_dim1_dp_op_CI_CI
    .private_segment_fixed_size: 0
    .sgpr_count:     50
    .sgpr_spill_count: 0
    .symbol:         bluestein_single_back_len1430_dim1_dp_op_CI_CI.kd
    .uniform_work_group_size: 1
    .uses_dynamic_stack: false
    .vgpr_count:     253
    .vgpr_spill_count: 0
    .wavefront_size: 32
    .workgroup_processor_mode: 1
amdhsa.target:   amdgcn-amd-amdhsa--gfx1100
amdhsa.version:
  - 1
  - 2
...

	.end_amdgpu_metadata
